;; amdgpu-corpus repo=ROCm/rocFFT kind=compiled arch=gfx1201 opt=O3
	.text
	.amdgcn_target "amdgcn-amd-amdhsa--gfx1201"
	.amdhsa_code_object_version 6
	.protected	bluestein_single_fwd_len3750_dim1_half_op_CI_CI ; -- Begin function bluestein_single_fwd_len3750_dim1_half_op_CI_CI
	.globl	bluestein_single_fwd_len3750_dim1_half_op_CI_CI
	.p2align	8
	.type	bluestein_single_fwd_len3750_dim1_half_op_CI_CI,@function
bluestein_single_fwd_len3750_dim1_half_op_CI_CI: ; @bluestein_single_fwd_len3750_dim1_half_op_CI_CI
; %bb.0:
	s_load_b128 s[12:15], s[0:1], 0x28
	v_mul_u32_u24_e32 v1, 0x20d, v0
	s_mov_b32 s2, exec_lo
	v_mov_b32_e32 v3, 0
	s_delay_alu instid0(VALU_DEP_2) | instskip(NEXT) | instid1(VALU_DEP_1)
	v_lshrrev_b32_e32 v1, 16, v1
	v_add_nc_u32_e32 v2, ttmp9, v1
	s_wait_kmcnt 0x0
	s_delay_alu instid0(VALU_DEP_1)
	v_cmpx_gt_u64_e64 s[12:13], v[2:3]
	s_cbranch_execz .LBB0_2
; %bb.1:
	s_clause 0x1
	s_load_b128 s[8:11], s[0:1], 0x18
	s_load_b128 s[4:7], s[0:1], 0x0
	v_mul_lo_u16 v1, 0x7d, v1
	s_movk_i32 s12, 0xdae4
	s_mov_b32 s13, -1
	s_load_b64 s[0:1], s[0:1], 0x38
	s_delay_alu instid0(VALU_DEP_1) | instskip(NEXT) | instid1(VALU_DEP_1)
	v_sub_nc_u16 v251, v0, v1
	v_and_b32_e32 v164, 0xffff, v251
	v_mov_b32_e32 v4, v2
	scratch_store_b64 off, v[4:5], off offset:192 ; 8-byte Folded Spill
	s_wait_kmcnt 0x0
	s_load_b128 s[16:19], s[8:9], 0x0
	s_wait_kmcnt 0x0
	v_mad_co_u64_u32 v[0:1], null, s18, v2, 0
	v_mad_co_u64_u32 v[2:3], null, s16, v164, 0
	s_mul_u64 s[2:3], s[16:17], 0x1388
	s_mul_u64 s[8:9], s[16:17], s[12:13]
	s_delay_alu instid0(VALU_DEP_1) | instskip(NEXT) | instid1(VALU_DEP_1)
	v_mad_co_u64_u32 v[4:5], null, s19, v4, v[1:2]
	v_mov_b32_e32 v1, v4
	s_delay_alu instid0(VALU_DEP_3)
	v_mad_co_u64_u32 v[5:6], null, s17, v164, v[3:4]
	v_lshlrev_b32_e32 v165, 2, v164
	s_clause 0x1
	global_load_b32 v52, v165, s[4:5]
	global_load_b32 v26, v165, s[4:5] offset:5000
	v_dual_mov_b32 v3, v5 :: v_dual_add_nc_u32 v58, 0x2800, v165
	v_lshlrev_b64_e32 v[0:1], 2, v[0:1]
	global_load_b32 v49, v165, s[4:5] offset:10000
	v_add_nc_u32_e32 v156, 0x200, v165
	v_lshlrev_b64_e32 v[2:3], 2, v[2:3]
	v_add_nc_u32_e32 v57, 0x1800, v165
	v_add_nc_u32_e32 v130, 0xa00, v165
	v_add_co_u32 v0, vcc_lo, s14, v0
	v_add_co_ci_u32_e32 v1, vcc_lo, s15, v1, vcc_lo
	v_add_nc_u32_e32 v224, 0xe00, v165
	s_delay_alu instid0(VALU_DEP_3) | instskip(SKIP_1) | instid1(VALU_DEP_3)
	v_add_co_u32 v0, vcc_lo, v0, v2
	s_wait_alu 0xfffd
	v_add_co_ci_u32_e32 v1, vcc_lo, v1, v3, vcc_lo
	v_add_nc_u32_e32 v68, 0x2e00, v165
	s_delay_alu instid0(VALU_DEP_3) | instskip(SKIP_1) | instid1(VALU_DEP_3)
	v_add_co_u32 v3, vcc_lo, v0, s2
	s_wait_alu 0xfffd
	v_add_co_ci_u32_e32 v4, vcc_lo, s3, v1, vcc_lo
	global_load_b32 v2, v[0:1], off
	v_add_co_u32 v0, vcc_lo, v3, s2
	s_wait_alu 0xfffd
	v_add_co_ci_u32_e32 v1, vcc_lo, s3, v4, vcc_lo
	s_clause 0x1
	global_load_b32 v51, v165, s[4:5] offset:500
	global_load_b32 v27, v165, s[4:5] offset:5500
	s_clause 0x1
	global_load_b32 v8, v[3:4], off
	global_load_b32 v7, v[0:1], off
	v_add_co_u32 v0, vcc_lo, v0, s8
	s_wait_alu 0xfffd
	v_add_co_ci_u32_e32 v1, vcc_lo, s9, v1, vcc_lo
	v_add_nc_u32_e32 v59, 0x1400, v165
	s_delay_alu instid0(VALU_DEP_3) | instskip(SKIP_1) | instid1(VALU_DEP_3)
	v_add_co_u32 v3, vcc_lo, v0, s2
	s_wait_alu 0xfffd
	v_add_co_ci_u32_e32 v4, vcc_lo, s3, v1, vcc_lo
	s_clause 0x1
	global_load_b32 v5, v[0:1], off
	global_load_b32 v0, v[3:4], off
	v_add_co_u32 v3, vcc_lo, v3, s2
	s_wait_alu 0xfffd
	v_add_co_ci_u32_e32 v4, vcc_lo, s3, v4, vcc_lo
	s_clause 0x2
	global_load_b32 v48, v165, s[4:5] offset:10500
	global_load_b32 v47, v165, s[4:5] offset:1000
	;; [unrolled: 1-line block ×3, first 2 shown]
	global_load_b32 v1, v[3:4], off
	v_add_co_u32 v3, vcc_lo, v3, s8
	s_wait_alu 0xfffd
	v_add_co_ci_u32_e32 v4, vcc_lo, s9, v4, vcc_lo
	global_load_b32 v46, v165, s[4:5] offset:11000
	v_add_co_u32 v9, vcc_lo, v3, s2
	s_wait_alu 0xfffd
	v_add_co_ci_u32_e32 v10, vcc_lo, s3, v4, vcc_lo
	global_load_b32 v3, v[3:4], off
	global_load_b32 v6, v[9:10], off
	v_add_co_u32 v9, vcc_lo, v9, s2
	s_wait_alu 0xfffd
	v_add_co_ci_u32_e32 v10, vcc_lo, s3, v10, vcc_lo
	global_load_b32 v45, v165, s[4:5] offset:1500
	global_load_b32 v4, v[9:10], off
	v_add_co_u32 v9, vcc_lo, v9, s8
	s_wait_alu 0xfffd
	v_add_co_ci_u32_e32 v10, vcc_lo, s9, v10, vcc_lo
	global_load_b32 v43, v165, s[4:5] offset:6500
	v_add_co_u32 v11, vcc_lo, v9, s2
	s_wait_alu 0xfffd
	v_add_co_ci_u32_e32 v12, vcc_lo, s3, v10, vcc_lo
	global_load_b32 v15, v[9:10], off
	global_load_b32 v40, v165, s[4:5] offset:7000
	global_load_b32 v16, v[11:12], off
	v_add_co_u32 v9, vcc_lo, v11, s2
	s_wait_alu 0xfffd
	v_add_co_ci_u32_e32 v10, vcc_lo, s3, v12, vcc_lo
	global_load_b32 v42, v165, s[4:5] offset:11500
	v_add_co_u32 v11, vcc_lo, v9, s8
	s_wait_alu 0xfffd
	v_add_co_ci_u32_e32 v12, vcc_lo, s9, v10, vcc_lo
	global_load_b32 v17, v[9:10], off
	v_add_co_u32 v9, vcc_lo, v11, s2
	s_wait_alu 0xfffd
	v_add_co_ci_u32_e32 v10, vcc_lo, s3, v12, vcc_lo
	global_load_b32 v41, v165, s[4:5] offset:2000
	global_load_b32 v18, v[9:10], off
	global_load_b32 v19, v[11:12], off
	v_add_co_u32 v9, vcc_lo, v9, s2
	s_wait_alu 0xfffd
	v_add_co_ci_u32_e32 v10, vcc_lo, s3, v10, vcc_lo
	global_load_b32 v39, v165, s[4:5] offset:12000
	global_load_b32 v20, v[9:10], off
	v_add_co_u32 v9, vcc_lo, v9, s8
	s_wait_alu 0xfffd
	v_add_co_ci_u32_e32 v10, vcc_lo, s9, v10, vcc_lo
	global_load_b32 v38, v165, s[4:5] offset:2500
	global_load_b32 v21, v[9:10], off
	global_load_b32 v37, v165, s[4:5] offset:7500
	v_add_co_u32 v9, vcc_lo, v9, s2
	s_wait_alu 0xfffd
	v_add_co_ci_u32_e32 v10, vcc_lo, s3, v10, vcc_lo
	v_add_nc_u32_e32 v174, 0x1200, v165
	s_delay_alu instid0(VALU_DEP_3) | instskip(SKIP_1) | instid1(VALU_DEP_3)
	v_add_co_u32 v11, vcc_lo, v9, s2
	s_wait_alu 0xfffd
	v_add_co_ci_u32_e32 v12, vcc_lo, s3, v10, vcc_lo
	global_load_b32 v22, v[9:10], off
	v_add_co_u32 v9, vcc_lo, v11, s8
	s_wait_alu 0xfffd
	v_add_co_ci_u32_e32 v10, vcc_lo, s9, v12, vcc_lo
	v_add_nc_u32_e32 v243, 0x2600, v165
	s_delay_alu instid0(VALU_DEP_3) | instskip(SKIP_1) | instid1(VALU_DEP_3)
	v_add_co_u32 v13, vcc_lo, v9, s2
	s_wait_alu 0xfffd
	v_add_co_ci_u32_e32 v14, vcc_lo, s3, v10, vcc_lo
	global_load_b32 v34, v165, s[4:5] offset:8000
	global_load_b32 v23, v[13:14], off
	global_load_b32 v36, v165, s[4:5] offset:12500
	global_load_b32 v24, v[11:12], off
	v_add_co_u32 v11, vcc_lo, v13, s2
	s_wait_alu 0xfffd
	v_add_co_ci_u32_e32 v12, vcc_lo, s3, v14, vcc_lo
	global_load_b32 v33, v165, s[4:5] offset:13000
	global_load_b32 v13, v[11:12], off
	global_load_b32 v35, v165, s[4:5] offset:3000
	global_load_b32 v14, v[9:10], off
	v_add_co_u32 v9, vcc_lo, v11, s8
	s_wait_alu 0xfffd
	v_add_co_ci_u32_e32 v10, vcc_lo, s9, v12, vcc_lo
	global_load_b32 v32, v165, s[4:5] offset:3500
	global_load_b32 v11, v[9:10], off
	s_clause 0x1
	global_load_b32 v31, v165, s[4:5] offset:4500
	global_load_b32 v30, v165, s[4:5] offset:9500
	v_add_co_u32 v9, vcc_lo, v9, s2
	s_wait_alu 0xfffd
	v_add_co_ci_u32_e32 v10, vcc_lo, s3, v10, vcc_lo
	v_add_nc_u32_e32 v250, 0x2a00, v165
	v_add_co_u32 v69, null, 0x7d, v164
	v_add_nc_u32_e32 v185, 0x2200, v165
	v_add_nc_u32_e32 v142, 0x1e00, v165
	;; [unrolled: 1-line block ×3, first 2 shown]
	v_add_co_u32 v72, null, 0xfa, v164
	v_add_co_u32 v96, null, 0x177, v164
	;; [unrolled: 1-line block ×4, first 2 shown]
	v_and_b32_e32 v70, 0xff, v69
	v_add_nc_u32_e32 v144, 0x600, v165
	s_wait_loadcnt 0x2d
	v_lshrrev_b32_e32 v50, 16, v52
	s_wait_loadcnt 0x2c
	v_mov_b32_e32 v29, v26
	s_clause 0x2
	scratch_store_b32 off, v52, off offset:244
	scratch_store_b32 off, v50, off offset:240
	;; [unrolled: 1-line block ×3, first 2 shown]
	v_lshrrev_b32_e32 v55, 16, v29
	s_wait_loadcnt 0x2b
	v_lshrrev_b32_e32 v53, 16, v49
	s_clause 0x1
	scratch_store_b32 off, v55, off offset:232
	scratch_store_b32 off, v49, off offset:220
	s_wait_loadcnt 0x2a
	v_lshrrev_b32_e32 v12, 16, v2
	v_mul_f16_e32 v25, v50, v2
	s_wait_loadcnt 0x29
	v_lshrrev_b32_e32 v56, 16, v51
	s_delay_alu instid0(VALU_DEP_3)
	v_mul_f16_e32 v26, v50, v12
	s_wait_loadcnt 0x28
	v_mov_b32_e32 v50, v27
	s_wait_loadcnt 0x27
	v_lshrrev_b32_e32 v27, 16, v8
	v_mul_f16_e32 v28, v55, v8
	v_fma_f16 v12, v52, v12, -v25
	v_fmac_f16_e32 v26, v52, v2
	s_wait_loadcnt 0x26
	v_lshrrev_b32_e32 v2, 16, v7
	v_mul_f16_e32 v25, v55, v27
	v_fma_f16 v27, v29, v27, -v28
	v_mul_f16_e32 v28, v53, v7
	v_pack_b32_f16 v12, v26, v12
	v_mul_f16_e32 v26, v53, v2
	v_fmac_f16_e32 v25, v29, v8
	s_wait_loadcnt 0x25
	v_lshrrev_b32_e32 v8, 16, v5
	v_mul_f16_e32 v29, v56, v5
	v_fma_f16 v2, v49, v2, -v28
	v_fmac_f16_e32 v26, v49, v7
	s_wait_loadcnt 0x23
	v_mov_b32_e32 v49, v48
	v_lshrrev_b32_e32 v54, 16, v50
	v_pack_b32_f16 v7, v25, v27
	v_mul_f16_e32 v25, v56, v8
	v_fma_f16 v8, v51, v8, -v29
	v_lshrrev_b32_e32 v29, 16, v49
	s_clause 0x1
	scratch_store_b32 off, v51, off offset:224
	scratch_store_b32 off, v56, off offset:228
	v_lshrrev_b32_e32 v27, 16, v0
	v_mul_f16_e32 v28, v54, v0
	v_pack_b32_f16 v2, v26, v2
	v_fmac_f16_e32 v25, v51, v5
	v_mov_b32_e32 v51, v29
	s_wait_loadcnt 0x22
	v_lshrrev_b32_e32 v48, 16, v47
	v_fma_f16 v5, v50, v27, -v28
	v_mul_f16_e32 v26, v54, v27
	s_wait_loadcnt 0x20
	v_lshrrev_b32_e32 v27, 16, v1
	ds_store_b32 v165, v7 offset:5000
	ds_store_b32 v165, v2 offset:10000
	v_mul_f16_e32 v7, v51, v1
	v_pack_b32_f16 v2, v25, v8
	v_lshrrev_b32_e32 v28, 16, v44
	v_fmac_f16_e32 v26, v50, v0
	s_wait_loadcnt 0x1e
	v_lshrrev_b32_e32 v8, 16, v3
	v_fma_f16 v0, v49, v27, -v7
	v_mul_f16_e32 v7, v51, v27
	ds_store_2addr_b32 v165, v12, v2 offset1:125
	v_mul_f16_e32 v2, v48, v3
	s_wait_loadcnt 0x1d
	v_lshrrev_b32_e32 v12, 16, v6
	v_lshrrev_b32_e32 v29, 16, v46
	v_mul_f16_e32 v25, v28, v6
	v_fmac_f16_e32 v7, v49, v1
	v_fma_f16 v1, v47, v8, -v2
	v_mul_f16_e32 v2, v48, v8
	v_mul_f16_e32 v8, v28, v12
	v_fma_f16 v12, v44, v12, -v25
	v_pack_b32_f16 v0, v7, v0
	s_wait_loadcnt 0x1b
	v_lshrrev_b32_e32 v7, 16, v4
	v_mul_f16_e32 v25, v29, v4
	v_fmac_f16_e32 v8, v44, v6
	v_pack_b32_f16 v5, v26, v5
	s_clause 0x1
	scratch_store_b32 off, v28, off offset:176
	scratch_store_b32 off, v44, off offset:180
	v_lshrrev_b32_e32 v28, 16, v45
	v_fmac_f16_e32 v2, v47, v3
	v_fma_f16 v3, v46, v7, -v25
	v_mul_f16_e32 v6, v29, v7
	v_pack_b32_f16 v7, v8, v12
	s_wait_loadcnt 0x19
	v_lshrrev_b32_e32 v8, 16, v15
	v_lshrrev_b32_e32 v26, 16, v43
	v_pack_b32_f16 v1, v2, v1
	v_fmac_f16_e32 v6, v46, v4
	v_mul_f16_e32 v2, v28, v15
	ds_store_2addr_b32 v59, v5, v7 offset0:95 offset1:220
	v_mul_f16_e32 v4, v28, v8
	s_wait_loadcnt 0x17
	v_lshrrev_b32_e32 v5, 16, v16
	v_pack_b32_f16 v3, v6, v3
	v_fma_f16 v2, v45, v8, -v2
	v_mul_f16_e32 v6, v26, v16
	v_fmac_f16_e32 v4, v45, v15
	v_mul_f16_e32 v7, v26, v5
	v_lshrrev_b32_e32 v12, 16, v40
	s_wait_loadcnt 0x16
	v_lshrrev_b32_e32 v25, 16, v42
	v_fma_f16 v5, v43, v5, -v6
	s_wait_loadcnt 0x14
	v_lshrrev_b32_e32 v8, 16, v41
	v_pack_b32_f16 v2, v4, v2
	v_fmac_f16_e32 v7, v43, v16
	s_wait_loadcnt 0x13
	v_lshrrev_b32_e32 v4, 16, v18
	ds_store_2addr_b32 v58, v0, v3 offset0:65 offset1:190
	v_lshrrev_b32_e32 v0, 16, v17
	v_mul_f16_e32 v3, v25, v17
	s_wait_loadcnt 0x12
	v_lshrrev_b32_e32 v6, 16, v19
	ds_store_2addr_b32 v156, v1, v2 offset0:122 offset1:247
	v_mul_f16_e32 v1, v12, v18
	v_mul_f16_e32 v2, v12, v4
	v_pack_b32_f16 v5, v7, v5
	v_mul_f16_e32 v7, v8, v19
	v_fma_f16 v3, v42, v0, -v3
	v_mul_f16_e32 v0, v25, v0
	v_fma_f16 v1, v40, v4, -v1
	v_fmac_f16_e32 v2, v40, v18
	v_fma_f16 v4, v41, v6, -v7
	v_mul_f16_e32 v6, v8, v6
	v_fmac_f16_e32 v0, v42, v17
	s_wait_loadcnt 0x11
	v_lshrrev_b32_e32 v7, 16, v39
	v_pack_b32_f16 v1, v2, v1
	s_wait_loadcnt 0x10
	v_lshrrev_b32_e32 v2, 16, v20
	v_fmac_f16_e32 v6, v41, v19
	s_clause 0x11
	scratch_store_b32 off, v50, off offset:208
	scratch_store_b32 off, v54, off offset:212
	;; [unrolled: 1-line block ×18, first 2 shown]
	s_clause 0x2
	global_load_b32 v17, v165, s[4:5] offset:13500
	global_load_b32 v15, v165, s[4:5] offset:14000
	;; [unrolled: 1-line block ×3, first 2 shown]
	v_pack_b32_f16 v0, v0, v3
	v_mul_f16_e32 v3, v7, v20
	ds_store_2addr_b32 v57, v5, v1 offset0:89 offset1:214
	v_mul_f16_e32 v1, v7, v2
	v_pack_b32_f16 v4, v6, v4
	s_wait_loadcnt 0x10
	v_lshrrev_b32_e32 v6, 16, v37
	s_clause 0x1
	scratch_store_b32 off, v39, off offset:116
	scratch_store_b32 off, v7, off offset:112
	v_lshrrev_b32_e32 v7, 16, v38
	v_fma_f16 v2, v39, v2, -v3
	scratch_store_b32 off, v6, off offset:108 ; 4-byte Folded Spill
	v_lshrrev_b32_e32 v3, 16, v21
	v_fmac_f16_e32 v1, v39, v20
	v_mul_f16_e32 v5, v7, v21
	s_clause 0x2
	scratch_store_b32 off, v38, off offset:120
	scratch_store_b32 off, v7, off offset:124
	;; [unrolled: 1-line block ×3, first 2 shown]
	v_pack_b32_f16 v1, v1, v2
	v_fma_f16 v5, v38, v3, -v5
	v_mul_f16_e32 v3, v7, v3
	v_add_nc_u32_e32 v7, 0x2c00, v165
	s_delay_alu instid0(VALU_DEP_2)
	v_fmac_f16_e32 v3, v38, v21
	ds_store_2addr_b32 v7, v0, v1 offset0:59 offset1:184
	s_wait_loadcnt 0xf
	v_mul_f16_e32 v0, v6, v22
	v_and_b32_e32 v38, 0xffff, v96
	v_pack_b32_f16 v2, v3, v5
	v_lshrrev_b32_e32 v3, 16, v22
	ds_store_2addr_b32 v144, v4, v2 offset0:116 offset1:241
	s_wait_loadcnt 0xe
	v_lshrrev_b32_e32 v4, 16, v34
	v_mul_f16_e32 v1, v6, v3
	v_fma_f16 v0, v37, v3, -v0
	s_wait_loadcnt 0xd
	v_lshrrev_b32_e32 v2, 16, v23
	v_mul_f16_e32 v3, v4, v23
	v_fmac_f16_e32 v1, v37, v22
	s_delay_alu instid0(VALU_DEP_2) | instskip(SKIP_1) | instid1(VALU_DEP_3)
	v_fma_f16 v3, v34, v2, -v3
	v_mul_f16_e32 v2, v4, v2
	v_pack_b32_f16 v0, v1, v0
	s_delay_alu instid0(VALU_DEP_2) | instskip(NEXT) | instid1(VALU_DEP_1)
	v_fmac_f16_e32 v2, v34, v23
	v_pack_b32_f16 v1, v2, v3
	s_wait_loadcnt 0xc
	v_lshrrev_b32_e32 v2, 16, v36
	scratch_store_b32 off, v37, off offset:104 ; 4-byte Folded Spill
	s_clause 0x1
	global_load_b32 v18, v165, s[4:5] offset:8500
	global_load_b32 v16, v165, s[4:5] offset:9000
	scratch_store_b32 off, v4, off offset:84 ; 4-byte Folded Spill
	v_add_nc_u32_e32 v4, 0x1c00, v165
	scratch_store_b32 off, v2, off offset:100 ; 4-byte Folded Spill
	global_load_b32 v8, v[9:10], off
	v_and_b32_e32 v37, 0xffff, v111
	ds_store_2addr_b32 v4, v0, v1 offset0:83 offset1:208
	s_wait_loadcnt 0xe
	v_lshrrev_b32_e32 v0, 16, v24
	v_mul_f16_e32 v1, v2, v24
	s_wait_loadcnt 0xd
	v_lshrrev_b32_e32 v4, 16, v33
	scratch_store_b32 off, v34, off offset:80 ; 4-byte Folded Spill
	v_fma_f16 v1, v36, v0, -v1
	scratch_store_b32 off, v4, off offset:76 ; 4-byte Folded Spill
	v_mul_f16_e32 v0, v2, v0
	s_wait_loadcnt 0xc
	v_lshrrev_b32_e32 v2, 16, v13
	v_mul_f16_e32 v3, v4, v13
	s_delay_alu instid0(VALU_DEP_3) | instskip(NEXT) | instid1(VALU_DEP_2)
	v_fmac_f16_e32 v0, v36, v24
	v_fma_f16 v3, v33, v2, -v3
	v_mul_f16_e32 v2, v4, v2
	s_wait_loadcnt 0x9
	v_lshrrev_b32_e32 v4, 16, v32
	v_pack_b32_f16 v0, v0, v1
	s_delay_alu instid0(VALU_DEP_3)
	v_fmac_f16_e32 v2, v33, v13
	scratch_store_b32 off, v4, off offset:68 ; 4-byte Folded Spill
	v_pack_b32_f16 v1, v2, v3
	v_add_nc_u32_e32 v2, 0x3000, v165
	s_wait_loadcnt 0x8
	v_mul_f16_e32 v3, v4, v11
	ds_store_2addr_b32 v2, v0, v1 offset0:53 offset1:178
	v_lshrrev_b32_e32 v2, 16, v35
	v_lshrrev_b32_e32 v0, 16, v14
	s_clause 0x1
	scratch_store_b32 off, v35, off offset:88
	scratch_store_b32 off, v36, off offset:96
	v_and_b32_e32 v36, 0xffff, v112
	v_mul_f16_e32 v1, v2, v14
	scratch_store_b32 off, v2, off offset:92 ; 4-byte Folded Spill
	v_fma_f16 v1, v35, v0, -v1
	v_mul_f16_e32 v0, v2, v0
	v_lshrrev_b32_e32 v2, 16, v11
	s_delay_alu instid0(VALU_DEP_2) | instskip(NEXT) | instid1(VALU_DEP_2)
	v_fmac_f16_e32 v0, v35, v14
	v_fma_f16 v3, v32, v2, -v3
	v_mul_f16_e32 v2, v4, v2
	v_and_b32_e32 v35, 0xff, v251
	s_delay_alu instid0(VALU_DEP_4) | instskip(NEXT) | instid1(VALU_DEP_3)
	v_pack_b32_f16 v0, v0, v1
	v_fmac_f16_e32 v2, v32, v11
	s_delay_alu instid0(VALU_DEP_1) | instskip(SKIP_4) | instid1(VALU_DEP_2)
	v_pack_b32_f16 v1, v2, v3
	ds_store_2addr_b32 v130, v0, v1 offset0:110 offset1:235
	v_add_co_u32 v0, vcc_lo, v9, s2
	s_wait_alu 0xfffd
	v_add_co_ci_u32_e32 v1, vcc_lo, s3, v10, vcc_lo
	v_add_co_u32 v2, vcc_lo, v0, s8
	s_wait_alu 0xfffd
	s_delay_alu instid0(VALU_DEP_2) | instskip(NEXT) | instid1(VALU_DEP_2)
	v_add_co_ci_u32_e32 v3, vcc_lo, s9, v1, vcc_lo
	v_add_co_u32 v4, vcc_lo, v2, s2
	s_wait_alu 0xfffd
	s_delay_alu instid0(VALU_DEP_2) | instskip(NEXT) | instid1(VALU_DEP_2)
	v_add_co_ci_u32_e32 v5, vcc_lo, s3, v3, vcc_lo
	v_add_co_u32 v6, vcc_lo, v4, s2
	global_load_b32 v4, v[4:5], off
	s_wait_alu 0xfffd
	v_add_co_ci_u32_e32 v7, vcc_lo, s3, v5, vcc_lo
	s_wait_loadcnt 0x3
	v_lshrrev_b32_e32 v10, 16, v18
	s_clause 0x1
	scratch_store_b32 off, v32, off offset:64
	scratch_store_b32 off, v33, off offset:72
	s_wait_loadcnt 0x2
	v_lshrrev_b32_e32 v11, 16, v16
	scratch_store_b32 off, v16, off offset:32 ; 4-byte Folded Spill
	s_wait_loadcnt 0x1
	v_lshrrev_b32_e32 v5, 16, v8
	v_mul_f16_e32 v9, v10, v8
	s_clause 0x1
	scratch_store_b32 off, v10, off offset:60
	scratch_store_b32 off, v11, off offset:36
	v_fma_f16 v9, v18, v5, -v9
	v_mul_f16_e32 v5, v10, v5
	s_delay_alu instid0(VALU_DEP_1) | instskip(SKIP_3) | instid1(VALU_DEP_1)
	v_fmac_f16_e32 v5, v18, v8
	s_wait_loadcnt 0x0
	v_lshrrev_b32_e32 v8, 16, v4
	v_mul_f16_e32 v10, v11, v4
	v_fma_f16 v10, v16, v8, -v10
	v_mul_f16_e32 v8, v11, v8
	s_delay_alu instid0(VALU_DEP_1)
	v_fmac_f16_e32 v8, v16, v4
	v_pack_b32_f16 v4, v5, v9
	v_lshrrev_b32_e32 v9, 16, v15
	scratch_store_b32 off, v15, off offset:24 ; 4-byte Folded Spill
	v_pack_b32_f16 v5, v8, v10
	v_add_nc_u32_e32 v8, 0x2000, v165
	scratch_store_b32 off, v9, off offset:28 ; 4-byte Folded Spill
	ds_store_2addr_b32 v8, v4, v5 offset0:77 offset1:202
	global_load_b32 v4, v[0:1], off
	global_load_b32 v5, v[6:7], off
	v_lshrrev_b32_e32 v8, 16, v17
	v_add_co_u32 v0, vcc_lo, v6, s8
	s_clause 0x2
	scratch_store_b32 off, v17, off offset:48
	scratch_store_b32 off, v18, off offset:56
	;; [unrolled: 1-line block ×3, first 2 shown]
	s_wait_alu 0xfffd
	v_add_co_ci_u32_e32 v1, vcc_lo, s9, v7, vcc_lo
	v_add_nc_u32_e32 v18, 0x3200, v165
	s_delay_alu instid0(VALU_DEP_1) | instskip(SKIP_3) | instid1(VALU_DEP_1)
	v_mov_b32_e32 v66, v18
	s_wait_loadcnt 0x1
	v_lshrrev_b32_e32 v6, 16, v4
	v_mul_f16_e32 v7, v8, v4
	v_fma_f16 v7, v17, v6, -v7
	v_mul_f16_e32 v6, v8, v6
	s_wait_loadcnt 0x0
	v_mul_f16_e32 v8, v9, v5
	s_delay_alu instid0(VALU_DEP_2) | instskip(SKIP_1) | instid1(VALU_DEP_1)
	v_fmac_f16_e32 v6, v17, v4
	v_lshrrev_b32_e32 v4, 16, v5
	v_fma_f16 v8, v15, v4, -v8
	v_mul_f16_e32 v4, v9, v4
	s_delay_alu instid0(VALU_DEP_1) | instskip(SKIP_2) | instid1(VALU_DEP_3)
	v_fmac_f16_e32 v4, v15, v5
	v_pack_b32_f16 v5, v6, v7
	v_add_nc_u32_e32 v6, 0x3400, v165
	v_pack_b32_f16 v4, v4, v8
	ds_store_2addr_b32 v6, v5, v4 offset0:47 offset1:172
	global_load_b32 v4, v[2:3], off
	v_add_co_u32 v2, vcc_lo, v0, s2
	global_load_b32 v0, v[0:1], off
	global_load_b32 v6, v165, s[4:5] offset:4000
	s_wait_alu 0xfffd
	v_add_co_ci_u32_e32 v3, vcc_lo, s3, v1, vcc_lo
	s_wait_loadcnt 0x2
	v_lshrrev_b32_e32 v1, 16, v4
	s_wait_loadcnt 0x0
	v_lshrrev_b32_e32 v7, 16, v6
	s_clause 0x1
	scratch_store_b32 off, v6, off offset:40
	scratch_store_b32 off, v7, off offset:44
	v_mul_f16_e32 v5, v7, v4
	s_delay_alu instid0(VALU_DEP_1) | instskip(SKIP_2) | instid1(VALU_DEP_2)
	v_fma_f16 v5, v6, v1, -v5
	v_mul_f16_e32 v1, v7, v1
	v_lshrrev_b32_e32 v7, 16, v31
	v_fmac_f16_e32 v1, v6, v4
	v_lshrrev_b32_e32 v4, 16, v0
	s_delay_alu instid0(VALU_DEP_3) | instskip(SKIP_3) | instid1(VALU_DEP_1)
	v_mul_f16_e32 v6, v7, v0
	scratch_store_b32 off, v7, off offset:20 ; 4-byte Folded Spill
	v_fma_f16 v6, v31, v4, -v6
	v_mul_f16_e32 v4, v7, v4
	v_fmac_f16_e32 v4, v31, v0
	v_pack_b32_f16 v0, v1, v5
	v_lshrrev_b32_e32 v5, 16, v12
	s_delay_alu instid0(VALU_DEP_3)
	v_pack_b32_f16 v1, v4, v6
	v_lshrrev_b32_e32 v4, 16, v30
	scratch_store_b32 off, v31, off offset:16 ; 4-byte Folded Spill
	ds_store_2addr_b32 v224, v0, v1 offset0:104 offset1:229
	v_add_co_u32 v0, vcc_lo, v2, s2
	s_wait_alu 0xfffd
	v_add_co_ci_u32_e32 v1, vcc_lo, s3, v3, vcc_lo
	v_cmp_gt_u16_e64 vcc_lo, 0x4b, v251
	global_load_b32 v2, v[2:3], off
	global_load_b32 v0, v[0:1], off
	s_clause 0x3
	scratch_store_b32 off, v4, off offset:12
	scratch_store_b32 off, v12, off
	scratch_store_b32 off, v5, off offset:4
	scratch_store_b32 off, v30, off offset:8
	s_wait_loadcnt 0x1
	v_lshrrev_b32_e32 v1, 16, v2
	v_mul_f16_e32 v3, v4, v2
	s_delay_alu instid0(VALU_DEP_1) | instskip(SKIP_3) | instid1(VALU_DEP_2)
	v_fma_f16 v3, v30, v1, -v3
	v_mul_f16_e32 v1, v4, v1
	s_wait_loadcnt 0x0
	v_mul_f16_e32 v4, v5, v0
	v_fmac_f16_e32 v1, v30, v2
	v_lshrrev_b32_e32 v2, 16, v0
	s_delay_alu instid0(VALU_DEP_1) | instskip(SKIP_1) | instid1(VALU_DEP_1)
	v_fma_f16 v4, v12, v2, -v4
	v_mul_f16_e32 v2, v5, v2
	v_fmac_f16_e32 v2, v12, v0
	v_pack_b32_f16 v0, v1, v3
	s_delay_alu instid0(VALU_DEP_2)
	v_pack_b32_f16 v1, v2, v4
	ds_store_b32 v165, v0 offset:9500
	ds_store_b32 v165, v1 offset:14500
	s_load_b128 s[8:11], s[10:11], 0x0
	global_wb scope:SCOPE_SE
	s_wait_storecnt_dscnt 0x0
	s_wait_kmcnt 0x0
	s_barrier_signal -1
	s_barrier_wait -1
	global_inv scope:SCOPE_SE
	ds_load_2addr_b32 v[0:1], v174 offset0:98 offset1:223
	ds_load_2addr_b32 v[2:3], v243 offset0:68 offset1:193
	ds_load_2addr_b32 v[4:5], v165 offset1:125
	s_mul_u64 s[14:15], s[8:9], 0x1388
	s_wait_dscnt 0x2
	v_lshrrev_b32_e32 v8, 16, v1
	s_wait_dscnt 0x1
	v_add_f16_e32 v6, v1, v3
	v_lshrrev_b32_e32 v24, 16, v3
	s_wait_dscnt 0x0
	v_add_f16_e32 v7, v5, v1
	v_lshrrev_b32_e32 v12, 16, v5
	v_sub_f16_e32 v1, v1, v3
	v_add_f16_e32 v10, v4, v0
	v_add_f16_e32 v9, v0, v2
	v_lshrrev_b32_e32 v11, 16, v0
	v_sub_f16_e32 v0, v0, v2
	v_fmac_f16_e32 v5, -0.5, v6
	v_add_f16_e32 v6, v8, v24
	v_add_f16_e32 v25, v12, v8
	;; [unrolled: 1-line block ×3, first 2 shown]
	v_fma_f16 v3, -0.5, v9, v4
	v_lshrrev_b32_e32 v4, 16, v4
	v_fmac_f16_e32 v12, -0.5, v6
	v_sub_f16_e32 v6, v8, v24
	v_add_f16_e32 v24, v25, v24
	s_delay_alu instid0(VALU_DEP_3) | instskip(NEXT) | instid1(VALU_DEP_3)
	v_fmamk_f16 v27, v1, 0xbaee, v12
	v_fmamk_f16 v26, v6, 0x3aee, v5
	v_fmac_f16_e32 v5, 0xbaee, v6
	v_fmac_f16_e32 v12, 0x3aee, v1
	v_add_f16_e32 v1, v10, v2
	v_lshrrev_b32_e32 v2, 16, v2
	v_add_f16_e32 v6, v4, v11
	v_add_nc_u32_e32 v10, 0x1a00, v165
	v_pack_b32_f16 v24, v28, v24
	v_pack_b32_f16 v29, v5, v12
	v_add_f16_e32 v5, v11, v2
	v_pack_b32_f16 v25, v26, v27
	v_mul_u32_u24_e32 v26, 3, v69
	v_mov_b32_e32 v67, v10
	s_delay_alu instid0(VALU_DEP_4) | instskip(SKIP_3) | instid1(VALU_DEP_3)
	v_fmac_f16_e32 v4, -0.5, v5
	v_sub_f16_e32 v5, v11, v2
	v_add_f16_e32 v2, v6, v2
	v_lshlrev_b32_e32 v26, 2, v26
	v_fmamk_f16 v6, v5, 0x3aee, v3
	v_fmac_f16_e32 v3, 0xbaee, v5
	v_fmamk_f16 v5, v0, 0xbaee, v4
	v_fmac_f16_e32 v4, 0x3aee, v0
	v_mul_lo_u16 v0, v251, 3
	v_pack_b32_f16 v30, v1, v2
	s_delay_alu instid0(VALU_DEP_4) | instskip(NEXT) | instid1(VALU_DEP_4)
	v_pack_b32_f16 v31, v6, v5
	v_pack_b32_f16 v32, v3, v4
	s_delay_alu instid0(VALU_DEP_4) | instskip(SKIP_1) | instid1(VALU_DEP_2)
	v_and_b32_e32 v0, 0xffff, v0
	v_add_nc_u32_e32 v4, 0x1600, v165
	v_lshlrev_b32_e32 v34, 2, v0
	s_delay_alu instid0(VALU_DEP_2)
	v_mov_b32_e32 v116, v4
	scratch_store_b32 off, v34, off offset:248 ; 4-byte Folded Spill
	ds_load_2addr_b32 v[0:1], v156 offset0:122 offset1:247
	ds_load_2addr_b32 v[2:3], v4 offset0:92 offset1:217
	;; [unrolled: 1-line block ×12, first 2 shown]
	global_wb scope:SCOPE_SE
	s_wait_storecnt_dscnt 0x0
	s_barrier_signal -1
	s_barrier_wait -1
	global_inv scope:SCOPE_SE
	ds_store_2addr_b32 v34, v30, v31 offset1:1
	ds_store_b32 v34, v32 offset:8
	v_mov_b32_e32 v34, v26
	ds_store_2addr_b32 v26, v24, v25 offset1:1
	ds_store_b32 v34, v29 offset:8
	v_lshrrev_b32_e32 v31, 16, v1
	v_add_f16_e32 v24, v3, v5
	v_add_f16_e32 v25, v1, v3
	v_lshrrev_b32_e32 v26, 16, v3
	v_sub_f16_e32 v3, v3, v5
	v_add_f16_e32 v27, v2, v4
	v_add_f16_e32 v28, v0, v2
	v_lshrrev_b32_e32 v30, 16, v2
	v_sub_f16_e32 v2, v2, v4
	v_fmac_f16_e32 v1, -0.5, v24
	v_lshrrev_b32_e32 v24, 16, v5
	v_add_f16_e32 v33, v31, v26
	v_add_f16_e32 v5, v25, v5
	v_fma_f16 v25, -0.5, v27, v0
	v_lshrrev_b32_e32 v0, 16, v0
	v_add_f16_e32 v32, v26, v24
	v_sub_f16_e32 v26, v26, v24
	s_delay_alu instid0(VALU_DEP_2) | instskip(NEXT) | instid1(VALU_DEP_2)
	v_fmac_f16_e32 v31, -0.5, v32
	v_fmamk_f16 v32, v26, 0x3aee, v1
	v_fmac_f16_e32 v1, 0xbaee, v26
	s_delay_alu instid0(VALU_DEP_3) | instskip(SKIP_4) | instid1(VALU_DEP_4)
	v_fmamk_f16 v26, v3, 0xbaee, v31
	v_fmac_f16_e32 v31, 0x3aee, v3
	v_add_f16_e32 v3, v28, v4
	v_lshrrev_b32_e32 v4, 16, v4
	v_add_f16_e32 v28, v0, v30
	v_pack_b32_f16 v1, v1, v31
	s_delay_alu instid0(VALU_DEP_3) | instskip(NEXT) | instid1(VALU_DEP_1)
	v_add_f16_e32 v27, v30, v4
	v_fmac_f16_e32 v0, -0.5, v27
	v_sub_f16_e32 v27, v30, v4
	v_add_f16_e32 v4, v28, v4
	s_delay_alu instid0(VALU_DEP_2)
	v_fmamk_f16 v28, v27, 0x3aee, v25
	v_fmac_f16_e32 v25, 0xbaee, v27
	v_fmamk_f16 v27, v2, 0xbaee, v0
	v_fmac_f16_e32 v0, 0x3aee, v2
	v_pack_b32_f16 v2, v3, v4
	v_mul_u32_u24_e32 v4, 3, v72
	s_delay_alu instid0(VALU_DEP_4) | instskip(NEXT) | instid1(VALU_DEP_4)
	v_pack_b32_f16 v3, v28, v27
	v_pack_b32_f16 v0, v25, v0
	v_lshrrev_b32_e32 v25, 16, v7
	s_delay_alu instid0(VALU_DEP_4)
	v_lshlrev_b32_e32 v4, 2, v4
	scratch_store_b32 off, v34, off offset:256 ; 4-byte Folded Spill
	v_and_b32_e32 v34, 0xffff, v72
	ds_store_2addr_b32 v4, v2, v3 offset1:1
	ds_store_b32 v4, v0 offset:8
	v_add_f16_e32 v2, v33, v24
	v_mul_u32_u24_e32 v0, 3, v96
	v_pack_b32_f16 v3, v32, v26
	scratch_store_b32 off, v4, off offset:252 ; 4-byte Folded Spill
	v_sub_f16_e32 v4, v8, v10
	v_lshrrev_b32_e32 v24, 16, v9
	v_pack_b32_f16 v2, v5, v2
	v_lshlrev_b32_e32 v0, 2, v0
	v_add_f16_e32 v5, v9, v11
	s_delay_alu instid0(VALU_DEP_4) | instskip(NEXT) | instid1(VALU_DEP_3)
	v_add_f16_e32 v27, v25, v24
	v_mov_b32_e32 v28, v0
	ds_store_2addr_b32 v0, v2, v3 offset1:1
	v_lshrrev_b32_e32 v0, 16, v8
	v_add_f16_e32 v2, v6, v8
	v_add_f16_e32 v3, v8, v10
	ds_store_b32 v28, v1 offset:8
	v_add_f16_e32 v8, v7, v9
	v_fmac_f16_e32 v7, -0.5, v5
	v_lshrrev_b32_e32 v5, 16, v11
	v_sub_f16_e32 v9, v9, v11
	v_add_f16_e32 v2, v2, v10
	v_fma_f16 v3, -0.5, v3, v6
	v_lshrrev_b32_e32 v6, 16, v6
	v_add_f16_e32 v26, v24, v5
	v_sub_f16_e32 v24, v24, v5
	v_add_f16_e32 v8, v8, v11
	s_delay_alu instid0(VALU_DEP_4) | instskip(NEXT) | instid1(VALU_DEP_4)
	v_add_f16_e32 v11, v6, v0
	v_fmac_f16_e32 v25, -0.5, v26
	s_delay_alu instid0(VALU_DEP_4) | instskip(SKIP_1) | instid1(VALU_DEP_3)
	v_fmamk_f16 v26, v24, 0x3aee, v7
	v_fmac_f16_e32 v7, 0xbaee, v24
	v_fmamk_f16 v24, v9, 0xbaee, v25
	v_fmac_f16_e32 v25, 0x3aee, v9
	v_lshrrev_b32_e32 v9, 16, v10
	s_delay_alu instid0(VALU_DEP_2) | instskip(NEXT) | instid1(VALU_DEP_2)
	v_pack_b32_f16 v7, v7, v25
	v_add_f16_e32 v10, v0, v9
	v_sub_f16_e32 v0, v0, v9
	v_add_f16_e32 v9, v11, v9
	s_delay_alu instid0(VALU_DEP_3) | instskip(NEXT) | instid1(VALU_DEP_3)
	v_fmac_f16_e32 v6, -0.5, v10
	v_fmamk_f16 v10, v0, 0x3aee, v3
	v_fmac_f16_e32 v3, 0xbaee, v0
	s_delay_alu instid0(VALU_DEP_4) | instskip(SKIP_4) | instid1(VALU_DEP_3)
	v_pack_b32_f16 v2, v2, v9
	v_lshrrev_b32_e32 v9, 16, v13
	v_fmamk_f16 v0, v4, 0xbaee, v6
	v_fmac_f16_e32 v6, 0x3aee, v4
	v_add_f16_e32 v4, v15, v17
	v_pack_b32_f16 v0, v10, v0
	s_delay_alu instid0(VALU_DEP_3) | instskip(SKIP_2) | instid1(VALU_DEP_2)
	v_pack_b32_f16 v1, v3, v6
	v_mul_u32_u24_e32 v3, 3, v111
	v_lshrrev_b32_e32 v6, 16, v15
	v_lshlrev_b32_e32 v3, 2, v3
	s_delay_alu instid0(VALU_DEP_2)
	v_add_f16_e32 v11, v9, v6
	ds_store_2addr_b32 v3, v2, v0 offset1:1
	ds_store_b32 v3, v1 offset:8
	v_add_f16_e32 v0, v27, v5
	v_mul_u32_u24_e32 v2, 3, v112
	v_add_f16_e32 v5, v13, v15
	v_fmac_f16_e32 v13, -0.5, v4
	v_lshrrev_b32_e32 v4, 16, v17
	v_pack_b32_f16 v1, v26, v24
	v_pack_b32_f16 v0, v8, v0
	v_lshlrev_b32_e32 v2, 2, v2
	v_sub_f16_e32 v8, v15, v17
	v_add_f16_e32 v10, v6, v4
	v_sub_f16_e32 v6, v6, v4
	v_add_f16_e32 v5, v5, v17
	v_mov_b32_e32 v24, v2
	ds_store_2addr_b32 v2, v0, v1 offset1:1
	v_add_f16_e32 v1, v14, v16
	v_fmac_f16_e32 v9, -0.5, v10
	scratch_store_b32 off, v3, off offset:260 ; 4-byte Folded Spill
	ds_store_b32 v24, v7 offset:8
	v_lshrrev_b32_e32 v0, 16, v14
	v_add_f16_e32 v3, v12, v14
	v_fmamk_f16 v10, v6, 0x3aee, v13
	v_fmac_f16_e32 v13, 0xbaee, v6
	v_fmamk_f16 v6, v8, 0xbaee, v9
	v_fmac_f16_e32 v9, 0x3aee, v8
	v_lshrrev_b32_e32 v8, 16, v16
	v_fma_f16 v1, -0.5, v1, v12
	v_lshrrev_b32_e32 v12, 16, v12
	v_sub_f16_e32 v2, v14, v16
	v_add_f16_e32 v3, v3, v16
	v_add_f16_e32 v7, v18, v20
	v_pack_b32_f16 v9, v13, v9
	v_add_f16_e32 v13, v0, v8
	v_add_f16_e32 v14, v12, v0
	v_sub_f16_e32 v0, v0, v8
	v_add_f16_e32 v7, v7, v22
	s_delay_alu instid0(VALU_DEP_4) | instskip(NEXT) | instid1(VALU_DEP_4)
	v_fmac_f16_e32 v12, -0.5, v13
	v_add_f16_e32 v8, v14, v8
	s_delay_alu instid0(VALU_DEP_4) | instskip(SKIP_1) | instid1(VALU_DEP_4)
	v_fmamk_f16 v13, v0, 0x3aee, v1
	v_fmac_f16_e32 v1, 0xbaee, v0
	v_fmamk_f16 v0, v2, 0xbaee, v12
	v_fmac_f16_e32 v12, 0x3aee, v2
	v_pack_b32_f16 v2, v3, v8
	v_add_nc_u32_e32 v3, 0x2ee, v164
	v_sub_f16_e32 v8, v20, v22
	v_pack_b32_f16 v0, v13, v0
	v_pack_b32_f16 v1, v1, v12
	v_lshrrev_b32_e32 v12, 16, v18
	v_mul_u32_u24_e32 v3, 3, v3
	s_delay_alu instid0(VALU_DEP_1)
	v_lshlrev_b32_e32 v3, 2, v3
	s_clause 0x1
	scratch_store_b32 off, v28, off offset:264
	scratch_store_b32 off, v24, off offset:272
	ds_store_2addr_b32 v3, v2, v0 offset1:1
	ds_store_b32 v3, v1 offset:8
	v_add_nc_u32_e32 v2, 0x36b, v164
	v_add_f16_e32 v0, v11, v4
	v_pack_b32_f16 v1, v10, v6
	scratch_store_b32 off, v3, off offset:268 ; 4-byte Folded Spill
	v_lshrrev_b32_e32 v3, 16, v23
	v_sub_f16_e32 v10, v21, v23
	v_add_f16_e32 v6, v20, v22
	v_mul_u32_u24_e32 v2, 3, v2
	v_pack_b32_f16 v0, v5, v0
	s_delay_alu instid0(VALU_DEP_3) | instskip(NEXT) | instid1(VALU_DEP_3)
	v_fma_f16 v6, -0.5, v6, v18
	v_lshlrev_b32_e32 v2, 2, v2
	s_delay_alu instid0(VALU_DEP_1)
	v_mov_b32_e32 v15, v2
	ds_store_2addr_b32 v2, v0, v1 offset1:1
	v_add_f16_e32 v0, v21, v23
	v_lshrrev_b32_e32 v1, 16, v19
	v_add_f16_e32 v2, v19, v21
	ds_store_b32 v15, v9 offset:8
	v_fmac_f16_e32 v19, -0.5, v0
	v_lshrrev_b32_e32 v0, 16, v21
	v_add_f16_e32 v2, v2, v23
	s_delay_alu instid0(VALU_DEP_2) | instskip(SKIP_2) | instid1(VALU_DEP_3)
	v_add_f16_e32 v4, v0, v3
	v_add_f16_e32 v5, v1, v0
	v_sub_f16_e32 v0, v0, v3
	v_fmac_f16_e32 v1, -0.5, v4
	v_lshrrev_b32_e32 v4, 16, v20
	s_delay_alu instid0(VALU_DEP_3)
	v_fmamk_f16 v11, v0, 0x3aee, v19
	v_fmac_f16_e32 v19, 0xbaee, v0
	v_add_f16_e32 v3, v5, v3
	v_fmamk_f16 v0, v10, 0xbaee, v1
	v_fmac_f16_e32 v1, 0x3aee, v10
	v_lshrrev_b32_e32 v10, 16, v22
	v_add_f16_e32 v14, v12, v4
	v_pack_b32_f16 v2, v2, v3
	v_add_nc_u32_e32 v3, 0x465, v164
	v_pack_b32_f16 v0, v11, v0
	v_add_f16_e32 v13, v4, v10
	v_sub_f16_e32 v4, v4, v10
	v_add_f16_e32 v10, v14, v10
	v_mul_u32_u24_e32 v3, 3, v3
	v_pack_b32_f16 v1, v19, v1
	v_fmac_f16_e32 v12, -0.5, v13
	v_fmamk_f16 v13, v4, 0x3aee, v6
	v_fmac_f16_e32 v6, 0xbaee, v4
	v_pack_b32_f16 v7, v7, v10
	v_lshlrev_b32_e32 v3, 2, v3
	v_fmamk_f16 v4, v8, 0xbaee, v12
	v_fmac_f16_e32 v12, 0x3aee, v8
	v_add_nc_u32_e32 v8, 0x3e8, v164
	scratch_store_b32 off, v3, off offset:276 ; 4-byte Folded Spill
	v_pack_b32_f16 v4, v13, v4
	v_pack_b32_f16 v6, v6, v12
	v_mul_u32_u24_e32 v8, 3, v8
	s_delay_alu instid0(VALU_DEP_1)
	v_lshlrev_b32_e32 v8, 2, v8
	s_clause 0x1
	scratch_store_b32 off, v15, off offset:280
	scratch_store_b32 off, v8, off offset:284
	ds_store_2addr_b32 v8, v7, v4 offset1:1
	ds_store_b32 v8, v6 offset:8
	ds_store_2addr_b32 v3, v2, v0 offset1:1
	ds_store_b32 v3, v1 offset:8
	v_mul_lo_u16 v0, 0xab, v35
	v_mul_lo_u16 v1, 0xab, v70
	global_wb scope:SCOPE_SE
	s_wait_storecnt_dscnt 0x0
	s_barrier_signal -1
	s_barrier_wait -1
	global_inv scope:SCOPE_SE
	ds_load_2addr_b32 v[8:9], v130 offset0:110 offset1:235
	v_lshrrev_b16 v0, 9, v0
	v_lshrrev_b16 v39, 9, v1
	s_delay_alu instid0(VALU_DEP_2) | instskip(NEXT) | instid1(VALU_DEP_2)
	v_mul_lo_u16 v1, v0, 3
	v_mul_lo_u16 v2, v39, 3
	v_and_b32_e32 v0, 0xffff, v0
	s_delay_alu instid0(VALU_DEP_3) | instskip(NEXT) | instid1(VALU_DEP_3)
	v_sub_nc_u16 v1, v251, v1
	v_sub_nc_u16 v2, v69, v2
	s_delay_alu instid0(VALU_DEP_3) | instskip(NEXT) | instid1(VALU_DEP_3)
	v_mul_u32_u24_e32 v0, 15, v0
	v_and_b32_e32 v1, 0xff, v1
	s_delay_alu instid0(VALU_DEP_3) | instskip(NEXT) | instid1(VALU_DEP_2)
	v_and_b32_e32 v2, 0xff, v2
	v_add_lshl_u32 v190, v0, v1, 2
	v_lshlrev_b32_e32 v0, 4, v1
	s_delay_alu instid0(VALU_DEP_3)
	v_lshlrev_b32_e32 v3, 4, v2
	s_wait_dscnt 0x0
	v_lshrrev_b32_e32 v1, 16, v8
	s_clause 0x1
	global_load_b128 v[245:248], v0, s[6:7]
	global_load_b128 v[204:207], v3, s[6:7]
	s_wait_loadcnt 0x1
	v_lshrrev_b32_e32 v3, 16, v245
	v_lshrrev_b32_e32 v14, 16, v246
	;; [unrolled: 1-line block ×4, first 2 shown]
	s_wait_loadcnt 0x0
	v_lshrrev_b32_e32 v5, 16, v204
	v_lshrrev_b32_e32 v13, 16, v205
	;; [unrolled: 1-line block ×4, first 2 shown]
	v_mul_f16_e32 v0, v1, v3
	v_mov_b32_e32 v7, v3
	v_lshrrev_b32_e32 v3, 16, v9
	v_mov_b32_e32 v6, v5
	s_delay_alu instid0(VALU_DEP_4) | instskip(NEXT) | instid1(VALU_DEP_3)
	v_fma_f16 v0, v8, v245, -v0
	v_mul_f16_e32 v4, v3, v5
	v_mul_f16_e32 v5, v8, v7
	s_delay_alu instid0(VALU_DEP_4) | instskip(NEXT) | instid1(VALU_DEP_3)
	v_mul_f16_e32 v6, v9, v6
	v_fma_f16 v4, v9, v204, -v4
	ds_load_2addr_b32 v[8:9], v116 offset0:92 offset1:217
	v_fmac_f16_e64 v5, v1, v245
	v_fmac_f16_e64 v6, v3, v204
	s_wait_dscnt 0x0
	v_lshrrev_b32_e32 v7, 16, v8
	v_lshrrev_b32_e32 v11, 16, v9
	v_mul_f16_e32 v55, v8, v14
	v_mul_f16_e32 v56, v9, v13
	s_delay_alu instid0(VALU_DEP_4) | instskip(NEXT) | instid1(VALU_DEP_4)
	v_mul_f16_e32 v10, v7, v14
	v_mul_f16_e32 v12, v11, v13
	s_delay_alu instid0(VALU_DEP_4) | instskip(NEXT) | instid1(VALU_DEP_4)
	v_fmac_f16_e64 v55, v7, v246
	v_fmac_f16_e64 v56, v11, v205
	s_delay_alu instid0(VALU_DEP_4) | instskip(NEXT) | instid1(VALU_DEP_4)
	v_fma_f16 v10, v8, v246, -v10
	v_fma_f16 v54, v9, v205, -v12
	ds_load_2addr_b32 v[8:9], v185 offset0:74 offset1:199
	s_wait_dscnt 0x0
	v_lshrrev_b32_e32 v12, 16, v8
	v_mul_f16_e32 v59, v8, v16
	v_mul_f16_e32 v60, v9, v15
	s_delay_alu instid0(VALU_DEP_3) | instskip(NEXT) | instid1(VALU_DEP_3)
	v_mul_f16_e32 v13, v12, v16
	v_fmac_f16_e64 v59, v12, v247
	s_delay_alu instid0(VALU_DEP_2) | instskip(SKIP_1) | instid1(VALU_DEP_3)
	v_fma_f16 v57, v8, v247, -v13
	v_lshrrev_b32_e32 v13, 16, v9
	v_sub_f16_e32 v87, v55, v59
	s_delay_alu instid0(VALU_DEP_3) | instskip(NEXT) | instid1(VALU_DEP_3)
	v_sub_f16_e32 v89, v10, v57
	v_mul_f16_e32 v14, v13, v15
	v_fmac_f16_e64 v60, v13, v206
	s_delay_alu instid0(VALU_DEP_2)
	v_fma_f16 v58, v9, v206, -v14
	ds_load_2addr_b32 v[8:9], v68 offset0:56 offset1:181
	v_sub_f16_e32 v75, v56, v60
	v_add_f16_e32 v1, v54, v58
	v_sub_f16_e32 v77, v54, v58
	s_wait_dscnt 0x0
	v_lshrrev_b32_e32 v14, 16, v8
	v_mul_f16_e32 v63, v8, v18
	v_mul_f16_e32 v64, v9, v17
	s_delay_alu instid0(VALU_DEP_3) | instskip(NEXT) | instid1(VALU_DEP_3)
	v_mul_f16_e32 v15, v14, v18
	v_fmac_f16_e64 v63, v14, v248
	s_delay_alu instid0(VALU_DEP_2) | instskip(SKIP_1) | instid1(VALU_DEP_3)
	v_fma_f16 v61, v8, v248, -v15
	v_lshrrev_b32_e32 v15, 16, v9
	v_sub_f16_e32 v86, v5, v63
	s_delay_alu instid0(VALU_DEP_3) | instskip(NEXT) | instid1(VALU_DEP_3)
	v_sub_f16_e32 v88, v0, v61
	v_mul_f16_e32 v16, v15, v17
	v_fmac_f16_e64 v64, v15, v207
	s_delay_alu instid0(VALU_DEP_2)
	v_fma_f16 v62, v9, v207, -v16
	ds_load_2addr_b32 v[8:9], v165 offset1:125
	v_sub_f16_e32 v13, v60, v64
	v_sub_f16_e32 v79, v6, v64
	ds_load_2addr_b32 v[44:45], v156 offset0:122 offset1:247
	ds_load_2addr_b32 v[46:47], v224 offset0:104 offset1:229
	;; [unrolled: 1-line block ×10, first 2 shown]
	v_add_f16_e32 v3, v4, v62
	v_sub_f16_e32 v12, v58, v62
	v_sub_f16_e32 v80, v4, v62
	s_wait_dscnt 0xa
	v_fma_f16 v1, -0.5, v1, v9
	v_lshrrev_b32_e32 v7, 16, v9
	v_add_f16_e32 v11, v9, v4
	v_fmac_f16_e32 v9, -0.5, v3
	v_sub_f16_e32 v3, v54, v4
	s_delay_alu instid0(VALU_DEP_4) | instskip(NEXT) | instid1(VALU_DEP_3)
	v_add_f16_e32 v71, v7, v6
	v_fmamk_f16 v76, v75, 0xbb9c, v9
	s_delay_alu instid0(VALU_DEP_3) | instskip(SKIP_2) | instid1(VALU_DEP_4)
	v_add_f16_e32 v3, v3, v12
	v_add_f16_e32 v12, v56, v60
	v_fmac_f16_e32 v9, 0x3b9c, v75
	v_fmac_f16_e32 v76, 0x38b4, v79
	s_delay_alu instid0(VALU_DEP_3) | instskip(SKIP_1) | instid1(VALU_DEP_4)
	v_fma_f16 v65, -0.5, v12, v7
	v_add_f16_e32 v12, v6, v64
	v_fmac_f16_e32 v9, 0xb8b4, v79
	s_delay_alu instid0(VALU_DEP_4) | instskip(NEXT) | instid1(VALU_DEP_3)
	v_fmac_f16_e32 v76, 0x34f2, v3
	v_fmac_f16_e32 v7, -0.5, v12
	v_sub_f16_e32 v12, v56, v6
	s_delay_alu instid0(VALU_DEP_4) | instskip(NEXT) | instid1(VALU_DEP_3)
	v_fmac_f16_e32 v9, 0x34f2, v3
	v_fmamk_f16 v78, v77, 0x3b9c, v7
	s_delay_alu instid0(VALU_DEP_3) | instskip(SKIP_4) | instid1(VALU_DEP_4)
	v_add_f16_e32 v74, v12, v13
	v_fmac_f16_e32 v7, 0xbb9c, v77
	v_add_f16_e32 v12, v10, v57
	v_sub_f16_e32 v13, v61, v57
	v_fmac_f16_e32 v78, 0xb8b4, v80
	v_fmac_f16_e32 v7, 0x38b4, v80
	s_delay_alu instid0(VALU_DEP_4) | instskip(SKIP_1) | instid1(VALU_DEP_4)
	v_fma_f16 v81, -0.5, v12, v8
	v_add_f16_e32 v12, v0, v61
	v_fmac_f16_e32 v78, 0x34f2, v74
	s_delay_alu instid0(VALU_DEP_4) | instskip(NEXT) | instid1(VALU_DEP_3)
	v_fmac_f16_e32 v7, 0x34f2, v74
	v_fma_f16 v82, -0.5, v12, v8
	v_sub_f16_e32 v12, v0, v10
	s_delay_alu instid0(VALU_DEP_4) | instskip(NEXT) | instid1(VALU_DEP_4)
	v_pack_b32_f16 v3, v76, v78
	v_pack_b32_f16 v7, v9, v7
	v_lshrrev_b32_e32 v9, 16, v8
	v_add_f16_e32 v8, v8, v0
	v_add_f16_e32 v83, v12, v13
	v_sub_f16_e32 v12, v5, v55
	v_sub_f16_e32 v13, v63, v59
	;; [unrolled: 1-line block ×3, first 2 shown]
	v_add_f16_e32 v8, v8, v10
	v_sub_f16_e32 v10, v55, v5
	s_delay_alu instid0(VALU_DEP_4) | instskip(SKIP_3) | instid1(VALU_DEP_3)
	v_add_f16_e32 v84, v12, v13
	v_add_f16_e32 v12, v9, v5
	;; [unrolled: 1-line block ×5, first 2 shown]
	s_delay_alu instid0(VALU_DEP_2) | instskip(NEXT) | instid1(VALU_DEP_2)
	v_add_f16_e32 v8, v8, v61
	v_add_f16_e32 v12, v12, v59
	s_delay_alu instid0(VALU_DEP_1) | instskip(NEXT) | instid1(VALU_DEP_1)
	v_add_f16_e32 v12, v12, v63
	v_pack_b32_f16 v8, v8, v12
	v_add_f16_e32 v12, v55, v59
	v_sub_f16_e32 v55, v59, v63
	s_delay_alu instid0(VALU_DEP_2) | instskip(SKIP_2) | instid1(VALU_DEP_4)
	v_fma_f16 v85, -0.5, v12, v9
	v_fmamk_f16 v12, v86, 0x3b9c, v81
	v_fmac_f16_e32 v9, -0.5, v5
	v_add_f16_e32 v5, v10, v55
	v_and_b32_e32 v10, 0xffff, v39
	v_fmac_f16_e32 v81, 0xbb9c, v86
	v_fmamk_f16 v13, v88, 0xbb9c, v85
	v_fmac_f16_e32 v12, 0x38b4, v87
	v_fmac_f16_e32 v85, 0x3b9c, v88
	v_mul_u32_u24_e32 v10, 15, v10
	v_fmac_f16_e32 v81, 0xb8b4, v87
	v_fmac_f16_e32 v13, 0xb8b4, v89
	v_fmac_f16_e32 v12, 0x34f2, v83
	v_fmac_f16_e32 v85, 0x38b4, v89
	v_add_lshl_u32 v143, v10, v2, 2
	v_fmac_f16_e32 v81, 0x34f2, v83
	v_fmac_f16_e32 v13, 0x34f2, v84
	s_delay_alu instid0(VALU_DEP_4) | instskip(NEXT) | instid1(VALU_DEP_2)
	v_fmac_f16_e32 v85, 0x34f2, v84
	v_pack_b32_f16 v90, v12, v13
	v_mul_u32_u24_e32 v12, 0xaaab, v34
	s_delay_alu instid0(VALU_DEP_1) | instskip(SKIP_1) | instid1(VALU_DEP_1)
	v_lshrrev_b32_e32 v91, 17, v12
	v_mul_u32_u24_e32 v12, 0xaaab, v38
	v_lshrrev_b32_e32 v92, 17, v12
	v_mul_u32_u24_e32 v12, 0xaaab, v37
	s_delay_alu instid0(VALU_DEP_1) | instskip(SKIP_1) | instid1(VALU_DEP_1)
	v_lshrrev_b32_e32 v42, 17, v12
	v_mul_u32_u24_e32 v12, 0xaaab, v36
	v_lshrrev_b32_e32 v40, 17, v12
	v_mul_lo_u16 v12, v91, 3
	s_delay_alu instid0(VALU_DEP_1) | instskip(SKIP_1) | instid1(VALU_DEP_1)
	v_sub_nc_u16 v93, v72, v12
	v_mul_lo_u16 v12, v92, 3
	v_sub_nc_u16 v94, v96, v12
	v_mul_lo_u16 v12, v42, 3
	s_delay_alu instid0(VALU_DEP_2) | instskip(NEXT) | instid1(VALU_DEP_2)
	v_lshlrev_b16 v13, 2, v94
	v_sub_nc_u16 v43, v111, v12
	v_mul_lo_u16 v12, v40, 3
	s_delay_alu instid0(VALU_DEP_3) | instskip(NEXT) | instid1(VALU_DEP_3)
	v_and_b32_e32 v13, 0xffff, v13
	v_lshlrev_b16 v14, 2, v43
	s_delay_alu instid0(VALU_DEP_3) | instskip(SKIP_1) | instid1(VALU_DEP_4)
	v_sub_nc_u16 v41, v112, v12
	v_lshlrev_b16 v12, 2, v93
	v_lshlrev_b32_e32 v13, 2, v13
	s_delay_alu instid0(VALU_DEP_4) | instskip(NEXT) | instid1(VALU_DEP_4)
	v_and_b32_e32 v14, 0xffff, v14
	v_lshlrev_b16 v15, 2, v41
	s_delay_alu instid0(VALU_DEP_4) | instskip(NEXT) | instid1(VALU_DEP_3)
	v_and_b32_e32 v12, 0xffff, v12
	v_lshlrev_b32_e32 v14, 2, v14
	s_delay_alu instid0(VALU_DEP_3) | instskip(NEXT) | instid1(VALU_DEP_3)
	v_and_b32_e32 v15, 0xffff, v15
	v_lshlrev_b32_e32 v12, 2, v12
	s_delay_alu instid0(VALU_DEP_2)
	v_lshlrev_b32_e32 v95, 2, v15
	s_clause 0x3
	global_load_b128 v[102:105], v12, s[6:7]
	global_load_b128 v[136:139], v13, s[6:7]
	;; [unrolled: 1-line block ×4, first 2 shown]
	global_wb scope:SCOPE_SE
	s_wait_loadcnt_dscnt 0x0
	s_barrier_signal -1
	s_barrier_wait -1
	global_inv scope:SCOPE_SE
	ds_store_2addr_b32 v190, v8, v90 offset1:3
	v_sub_f16_e32 v8, v57, v61
	s_delay_alu instid0(VALU_DEP_1) | instskip(SKIP_2) | instid1(VALU_DEP_2)
	v_add_f16_e32 v0, v0, v8
	v_fmamk_f16 v8, v87, 0xbb9c, v82
	v_fmac_f16_e32 v82, 0x3b9c, v87
	v_fmac_f16_e32 v8, 0x38b4, v86
	s_delay_alu instid0(VALU_DEP_2) | instskip(NEXT) | instid1(VALU_DEP_2)
	v_fmac_f16_e32 v82, 0xb8b4, v86
	v_fmac_f16_e32 v8, 0x34f2, v0
	s_delay_alu instid0(VALU_DEP_2) | instskip(SKIP_2) | instid1(VALU_DEP_2)
	v_fmac_f16_e32 v82, 0x34f2, v0
	v_fmamk_f16 v0, v89, 0x3b9c, v9
	v_fmac_f16_e32 v9, 0xbb9c, v89
	v_fmac_f16_e32 v0, 0xb8b4, v88
	s_delay_alu instid0(VALU_DEP_2) | instskip(NEXT) | instid1(VALU_DEP_2)
	v_fmac_f16_e32 v9, 0x38b4, v88
	v_fmac_f16_e32 v0, 0x34f2, v5
	s_delay_alu instid0(VALU_DEP_2) | instskip(NEXT) | instid1(VALU_DEP_2)
	v_fmac_f16_e32 v9, 0x34f2, v5
	v_pack_b32_f16 v0, v8, v0
	s_delay_alu instid0(VALU_DEP_2)
	v_pack_b32_f16 v5, v82, v9
	v_sub_f16_e32 v8, v62, v58
	v_sub_f16_e32 v9, v64, v60
	ds_store_2addr_b32 v190, v0, v5 offset0:6 offset1:9
	v_sub_f16_e32 v0, v4, v54
	v_add_f16_e32 v4, v11, v54
	v_sub_f16_e32 v5, v6, v56
	v_add_f16_e32 v6, v71, v56
	s_delay_alu instid0(VALU_DEP_4) | instskip(NEXT) | instid1(VALU_DEP_4)
	v_add_f16_e32 v0, v0, v8
	v_add_f16_e32 v4, v4, v58
	v_fmamk_f16 v8, v80, 0xbb9c, v65
	s_delay_alu instid0(VALU_DEP_4)
	v_add_f16_e32 v6, v6, v60
	v_add_f16_e32 v2, v5, v9
	v_pack_b32_f16 v5, v81, v85
	v_fmac_f16_e32 v65, 0x3b9c, v80
	v_add_f16_e32 v4, v4, v62
	v_add_f16_e32 v6, v6, v64
	v_fmac_f16_e32 v8, 0xb8b4, v77
	v_mov_b32_e32 v62, v116
	v_fmac_f16_e32 v65, 0x38b4, v77
	s_delay_alu instid0(VALU_DEP_4) | instskip(SKIP_4) | instid1(VALU_DEP_4)
	v_pack_b32_f16 v4, v4, v6
	v_fmamk_f16 v6, v79, 0x3b9c, v1
	v_fmac_f16_e32 v8, 0x34f2, v2
	v_fmac_f16_e32 v1, 0xbb9c, v79
	;; [unrolled: 1-line block ×4, first 2 shown]
	s_delay_alu instid0(VALU_DEP_3) | instskip(NEXT) | instid1(VALU_DEP_2)
	v_fmac_f16_e32 v1, 0xb8b4, v75
	v_fmac_f16_e32 v6, 0x34f2, v0
	s_delay_alu instid0(VALU_DEP_2) | instskip(SKIP_1) | instid1(VALU_DEP_3)
	v_fmac_f16_e32 v1, 0x34f2, v0
	v_lshrrev_b32_e32 v0, 16, v46
	v_pack_b32_f16 v6, v6, v8
	ds_store_b32 v190, v5 offset:48
	ds_store_2addr_b32 v143, v4, v6 offset1:3
	ds_store_2addr_b32 v143, v3, v7 offset0:6 offset1:9
	v_pack_b32_f16 v1, v1, v65
	ds_store_b32 v143, v1 offset:48
	v_lshrrev_b32_e32 v4, 16, v102
	v_lshrrev_b32_e32 v6, 16, v103
	;; [unrolled: 1-line block ×4, first 2 shown]
	s_delay_alu instid0(VALU_DEP_4) | instskip(NEXT) | instid1(VALU_DEP_4)
	v_mul_f16_e32 v3, v46, v4
	v_mul_f16_e32 v5, v48, v6
	s_delay_alu instid0(VALU_DEP_4) | instskip(NEXT) | instid1(VALU_DEP_4)
	v_mul_f16_e32 v7, v50, v8
	v_mul_f16_e32 v9, v52, v10
	s_delay_alu instid0(VALU_DEP_4) | instskip(SKIP_2) | instid1(VALU_DEP_2)
	v_fmac_f16_e32 v3, v0, v102
	v_mul_f16_e32 v0, v0, v4
	v_lshrrev_b32_e32 v4, 16, v48
	v_fma_f16 v0, v46, v102, -v0
	s_delay_alu instid0(VALU_DEP_2)
	v_fmac_f16_e32 v5, v4, v103
	v_mul_f16_e32 v4, v4, v6
	v_lshrrev_b32_e32 v6, 16, v50
	v_lshrrev_b32_e32 v46, 16, v44
	v_add_f16_e32 v39, v44, v0
	v_sub_f16_e32 v2, v3, v5
	v_fma_f16 v4, v48, v103, -v4
	v_fmac_f16_e32 v7, v6, v104
	v_mul_f16_e32 v6, v6, v8
	v_lshrrev_b32_e32 v8, 16, v52
	v_add_f16_e32 v48, v46, v3
	v_add_f16_e32 v39, v39, v4
	v_sub_f16_e32 v54, v5, v7
	v_fma_f16 v6, v50, v104, -v6
	v_fmac_f16_e32 v9, v8, v105
	v_mul_f16_e32 v8, v8, v10
	v_sub_f16_e32 v10, v0, v4
	v_add_f16_e32 v48, v48, v5
	v_add_f16_e32 v55, v5, v7
	v_add_f16_e32 v39, v39, v6
	v_fma_f16 v8, v52, v105, -v8
	v_sub_f16_e32 v57, v4, v6
	v_add_f16_e32 v48, v48, v7
	v_sub_f16_e32 v50, v3, v9
	v_fma_f16 v55, -0.5, v55, v46
	v_sub_f16_e32 v11, v8, v6
	v_add_f16_e32 v39, v39, v8
	v_add_f16_e32 v48, v48, v9
	v_sub_f16_e32 v56, v0, v8
	s_delay_alu instid0(VALU_DEP_4) | instskip(SKIP_1) | instid1(VALU_DEP_4)
	v_add_f16_e32 v10, v10, v11
	v_sub_f16_e32 v11, v9, v7
	v_pack_b32_f16 v39, v39, v48
	v_add_f16_e32 v48, v4, v6
	v_fmamk_f16 v58, v56, 0xbb9c, v55
	v_fmac_f16_e32 v55, 0x3b9c, v56
	v_add_f16_e32 v2, v2, v11
	v_mad_u16 v11, v91, 15, v93
	v_fma_f16 v48, -0.5, v48, v44
	v_fmac_f16_e32 v58, 0xb8b4, v57
	v_fmac_f16_e32 v55, 0x38b4, v57
	s_delay_alu instid0(VALU_DEP_4) | instskip(NEXT) | instid1(VALU_DEP_4)
	v_and_b32_e32 v1, 0xffff, v11
	v_fmamk_f16 v52, v50, 0x3b9c, v48
	s_delay_alu instid0(VALU_DEP_4)
	v_fmac_f16_e32 v58, 0x34f2, v2
	v_lshrrev_b32_e32 v11, 16, v53
	v_fmac_f16_e32 v48, 0xbb9c, v50
	v_fmac_f16_e32 v55, 0x34f2, v2
	v_lshlrev_b32_e32 v129, 2, v1
	v_sub_f16_e32 v1, v4, v0
	v_add_f16_e32 v0, v0, v8
	v_sub_f16_e32 v4, v6, v8
	v_fmac_f16_e32 v52, 0x38b4, v54
	v_lshrrev_b32_e32 v6, 16, v51
	v_lshrrev_b32_e32 v8, 16, v138
	v_fmac_f16_e32 v48, 0xb8b4, v54
	v_fma_f16 v0, -0.5, v0, v44
	v_add_f16_e32 v1, v1, v4
	v_add_f16_e32 v4, v3, v9
	v_sub_f16_e32 v3, v5, v3
	v_fmac_f16_e32 v52, 0x34f2, v10
	v_fmac_f16_e32 v48, 0x34f2, v10
	v_mad_u16 v10, v92, 15, v94
	v_fmamk_f16 v5, v54, 0xbb9c, v0
	v_fmac_f16_e32 v0, 0x3b9c, v54
	v_fmac_f16_e32 v46, -0.5, v4
	v_sub_f16_e32 v4, v7, v9
	v_pack_b32_f16 v52, v52, v58
	v_lshrrev_b32_e32 v9, 16, v139
	v_mul_f16_e32 v7, v6, v8
	v_mul_f16_e32 v8, v51, v8
	v_fmac_f16_e32 v5, 0x38b4, v50
	v_fmac_f16_e32 v0, 0xb8b4, v50
	ds_store_2addr_b32 v129, v39, v52 offset1:3
	v_mul_f16_e32 v39, v11, v9
	v_mul_f16_e32 v44, v53, v9
	v_fma_f16 v7, v51, v138, -v7
	v_fmac_f16_e64 v8, v6, v138
	v_lshrrev_b32_e32 v9, 16, v254
	v_fmac_f16_e32 v5, 0x34f2, v1
	v_fmac_f16_e32 v0, 0x34f2, v1
	v_add_f16_e32 v1, v3, v4
	v_fmamk_f16 v3, v57, 0x3b9c, v46
	v_fmac_f16_e32 v46, 0xbb9c, v57
	v_fma_f16 v39, v53, v139, -v39
	v_fmac_f16_e64 v44, v11, v139
	s_delay_alu instid0(VALU_DEP_4) | instskip(NEXT) | instid1(VALU_DEP_4)
	v_fmac_f16_e32 v3, 0xb8b4, v56
	v_fmac_f16_e32 v46, 0x38b4, v56
	s_delay_alu instid0(VALU_DEP_4) | instskip(NEXT) | instid1(VALU_DEP_4)
	v_sub_f16_e32 v2, v39, v7
	v_sub_f16_e32 v6, v44, v8
	s_delay_alu instid0(VALU_DEP_4) | instskip(NEXT) | instid1(VALU_DEP_4)
	v_fmac_f16_e32 v3, 0x34f2, v1
	v_fmac_f16_e32 v46, 0x34f2, v1
	s_delay_alu instid0(VALU_DEP_2) | instskip(NEXT) | instid1(VALU_DEP_2)
	v_pack_b32_f16 v1, v5, v3
	v_pack_b32_f16 v0, v0, v46
	v_lshrrev_b32_e32 v3, 16, v136
	v_lshrrev_b32_e32 v5, 16, v137
	;; [unrolled: 1-line block ×3, first 2 shown]
	ds_store_2addr_b32 v129, v1, v0 offset0:6 offset1:9
	v_lshrrev_b32_e32 v0, 16, v47
	s_delay_alu instid0(VALU_DEP_1) | instskip(SKIP_1) | instid1(VALU_DEP_2)
	v_mul_f16_e32 v1, v0, v3
	v_mul_f16_e32 v3, v47, v3
	v_fma_f16 v1, v47, v136, -v1
	s_delay_alu instid0(VALU_DEP_2) | instskip(SKIP_1) | instid1(VALU_DEP_3)
	v_fmac_f16_e64 v3, v0, v136
	v_lshrrev_b32_e32 v0, 16, v49
	v_add_f16_e32 v11, v45, v1
	s_delay_alu instid0(VALU_DEP_3) | instskip(NEXT) | instid1(VALU_DEP_3)
	v_add_f16_e32 v47, v46, v3
	v_mul_f16_e32 v4, v0, v5
	v_mul_f16_e32 v5, v49, v5
	v_sub_f16_e32 v52, v1, v39
	s_delay_alu instid0(VALU_DEP_3) | instskip(NEXT) | instid1(VALU_DEP_3)
	v_fma_f16 v4, v49, v137, -v4
	v_fmac_f16_e64 v5, v0, v137
	v_sub_f16_e32 v49, v3, v44
	s_delay_alu instid0(VALU_DEP_3) | instskip(SKIP_1) | instid1(VALU_DEP_4)
	v_sub_f16_e32 v0, v1, v4
	v_add_f16_e32 v11, v11, v4
	v_add_f16_e32 v47, v47, v5
	v_sub_f16_e32 v50, v5, v8
	v_sub_f16_e32 v53, v4, v7
	v_add_f16_e32 v0, v0, v2
	v_sub_f16_e32 v2, v3, v5
	v_add_f16_e32 v11, v11, v7
	v_add_f16_e32 v47, v47, v8
	s_delay_alu instid0(VALU_DEP_3) | instskip(SKIP_1) | instid1(VALU_DEP_4)
	v_add_f16_e32 v2, v2, v6
	v_pack_b32_f16 v6, v48, v55
	v_add_f16_e32 v11, v11, v39
	s_delay_alu instid0(VALU_DEP_4)
	v_add_f16_e32 v47, v47, v44
	v_add_f16_e32 v48, v5, v8
	v_sub_f16_e32 v5, v5, v3
	v_add_f16_e32 v3, v3, v44
	ds_store_b32 v129, v6 offset:48
	v_pack_b32_f16 v11, v11, v47
	v_add_f16_e32 v47, v4, v7
	v_and_b32_e32 v6, 0xffff, v10
	v_sub_f16_e32 v4, v4, v1
	v_add_f16_e32 v1, v1, v39
	v_fma_f16 v48, -0.5, v48, v46
	v_fmac_f16_e32 v46, -0.5, v3
	v_fma_f16 v47, -0.5, v47, v45
	v_lshlrev_b32_e32 v114, 2, v6
	v_sub_f16_e32 v6, v7, v39
	v_sub_f16_e32 v7, v8, v44
	v_fmac_f16_e32 v45, -0.5, v1
	v_fmamk_f16 v54, v52, 0xbb9c, v48
	v_fmac_f16_e32 v48, 0x3b9c, v52
	v_add_f16_e32 v1, v4, v6
	v_add_f16_e32 v3, v5, v7
	v_fmamk_f16 v4, v50, 0xbb9c, v45
	v_fmac_f16_e32 v45, 0x3b9c, v50
	v_fmamk_f16 v5, v53, 0x3b9c, v46
	v_fmac_f16_e32 v46, 0xbb9c, v53
	;; [unrolled: 2-line block ×3, first 2 shown]
	v_fmac_f16_e32 v45, 0xb8b4, v49
	v_fmac_f16_e32 v5, 0xb8b4, v52
	;; [unrolled: 1-line block ×12, first 2 shown]
	v_pack_b32_f16 v6, v45, v46
	v_pack_b32_f16 v1, v4, v5
	v_fmac_f16_e32 v47, 0xb8b4, v50
	v_fmac_f16_e32 v48, 0x34f2, v2
	v_lshrrev_b32_e32 v2, 16, v150
	v_fmac_f16_e32 v51, 0x34f2, v0
	ds_store_2addr_b32 v114, v1, v6 offset0:6 offset1:9
	v_fmac_f16_e32 v47, 0x34f2, v0
	v_lshrrev_b32_e32 v0, 16, v32
	v_mul_f16_e32 v1, v32, v2
	v_lshrrev_b32_e32 v4, 16, v151
	v_lshrrev_b32_e32 v6, 16, v152
	;; [unrolled: 1-line block ×4, first 2 shown]
	v_fmac_f16_e64 v1, v0, v150
	v_mul_f16_e32 v0, v0, v2
	v_lshrrev_b32_e32 v2, 16, v30
	v_mul_f16_e32 v3, v30, v4
	v_mul_f16_e32 v5, v28, v6
	;; [unrolled: 1-line block ×3, first 2 shown]
	v_fma_f16 v0, v32, v150, -v0
	v_pack_b32_f16 v51, v51, v54
	v_fmac_f16_e64 v3, v2, v151
	v_mul_f16_e32 v2, v2, v4
	v_lshrrev_b32_e32 v4, 16, v28
	v_add_f16_e32 v32, v24, v0
	ds_store_2addr_b32 v114, v11, v51 offset1:3
	v_fma_f16 v2, v30, v151, -v2
	v_fmac_f16_e64 v5, v4, v152
	v_mul_f16_e32 v4, v4, v6
	v_lshrrev_b32_e32 v6, 16, v26
	v_pack_b32_f16 v30, v47, v48
	v_add_f16_e32 v32, v32, v2
	v_sub_f16_e32 v45, v3, v5
	v_fma_f16 v4, v28, v152, -v4
	v_fmac_f16_e64 v7, v6, v153
	v_mul_f16_e32 v6, v6, v8
	v_sub_f16_e32 v8, v0, v2
	v_add_f16_e32 v46, v3, v5
	v_add_f16_e32 v32, v32, v4
	v_sub_f16_e32 v28, v7, v5
	v_fma_f16 v6, v26, v153, -v6
	v_sub_f16_e32 v48, v2, v4
	v_fma_f16 v46, -0.5, v46, v39
	ds_store_b32 v114, v30 offset:48
	v_sub_f16_e32 v26, v6, v4
	v_add_f16_e32 v32, v32, v6
	v_sub_f16_e32 v47, v0, v6
	s_delay_alu instid0(VALU_DEP_3) | instskip(SKIP_1) | instid1(VALU_DEP_3)
	v_add_f16_e32 v8, v8, v26
	v_sub_f16_e32 v26, v1, v3
	v_fmamk_f16 v49, v47, 0xbb9c, v46
	v_fmac_f16_e32 v46, 0x3b9c, v47
	s_delay_alu instid0(VALU_DEP_3)
	v_add_f16_e32 v26, v26, v28
	v_mad_u16 v28, v42, 15, v43
	v_add_f16_e32 v42, v39, v1
	v_sub_f16_e32 v43, v1, v7
	v_fmac_f16_e32 v49, 0xb8b4, v48
	v_fmac_f16_e32 v46, 0x38b4, v48
	v_and_b32_e32 v28, 0xffff, v28
	v_add_f16_e32 v42, v42, v3
	s_delay_alu instid0(VALU_DEP_4) | instskip(NEXT) | instid1(VALU_DEP_4)
	v_fmac_f16_e32 v49, 0x34f2, v26
	v_fmac_f16_e32 v46, 0x34f2, v26
	s_delay_alu instid0(VALU_DEP_4) | instskip(NEXT) | instid1(VALU_DEP_4)
	v_lshlrev_b32_e32 v201, 2, v28
	v_add_f16_e32 v42, v42, v5
	v_lshrrev_b32_e32 v28, 16, v27
	s_delay_alu instid0(VALU_DEP_2) | instskip(NEXT) | instid1(VALU_DEP_1)
	v_add_f16_e32 v42, v42, v7
	v_pack_b32_f16 v32, v32, v42
	v_add_f16_e32 v42, v2, v4
	v_sub_f16_e32 v2, v2, v0
	v_sub_f16_e32 v4, v4, v6
	v_add_f16_e32 v0, v0, v6
	v_lshrrev_b32_e32 v6, 16, v29
	v_fma_f16 v42, -0.5, v42, v24
	s_delay_alu instid0(VALU_DEP_4)
	v_add_f16_e32 v2, v2, v4
	v_add_f16_e32 v4, v1, v7
	v_fma_f16 v0, -0.5, v0, v24
	v_sub_f16_e32 v1, v3, v1
	v_sub_f16_e32 v3, v5, v7
	v_lshrrev_b32_e32 v5, 16, v253
	v_fmac_f16_e32 v39, -0.5, v4
	v_fmamk_f16 v4, v45, 0xbb9c, v0
	v_fmac_f16_e32 v0, 0x3b9c, v45
	v_add_f16_e32 v1, v1, v3
	v_lshrrev_b32_e32 v3, 16, v31
	v_mul_f16_e32 v7, v6, v9
	v_fmac_f16_e32 v4, 0x38b4, v43
	v_fmac_f16_e32 v0, 0xb8b4, v43
	v_mul_f16_e32 v24, v29, v9
	v_lshrrev_b32_e32 v9, 16, v255
	v_fmamk_f16 v44, v43, 0x3b9c, v42
	v_fmac_f16_e32 v4, 0x34f2, v2
	v_fmac_f16_e32 v0, 0x34f2, v2
	v_fmamk_f16 v2, v48, 0x3b9c, v39
	v_fmac_f16_e32 v39, 0xbb9c, v48
	v_fma_f16 v7, v29, v254, -v7
	v_mul_f16_e32 v29, v28, v9
	v_fmac_f16_e32 v44, 0x38b4, v45
	v_fmac_f16_e32 v2, 0xb8b4, v47
	;; [unrolled: 1-line block ×4, first 2 shown]
	v_fma_f16 v29, v27, v255, -v29
	v_fmac_f16_e32 v44, 0x34f2, v8
	v_fmac_f16_e32 v2, 0x34f2, v1
	v_fmac_f16_e32 v39, 0x34f2, v1
	v_mul_f16_e32 v27, v27, v9
	v_fmac_f16_e64 v24, v6, v254
	v_pack_b32_f16 v44, v44, v49
	v_pack_b32_f16 v1, v4, v2
	v_pack_b32_f16 v0, v0, v39
	v_lshrrev_b32_e32 v2, 16, v252
	v_mul_f16_e32 v4, v3, v5
	v_mul_f16_e32 v5, v31, v5
	v_fmac_f16_e64 v27, v28, v255
	ds_store_2addr_b32 v201, v1, v0 offset0:6 offset1:9
	v_lshrrev_b32_e32 v0, 16, v33
	v_fma_f16 v4, v31, v253, -v4
	v_fmac_f16_e64 v5, v3, v253
	v_lshrrev_b32_e32 v6, 16, v25
	v_sub_f16_e32 v30, v7, v29
	v_mul_f16_e32 v1, v0, v2
	v_mul_f16_e32 v2, v33, v2
	v_fmac_f16_e32 v42, 0xb8b4, v45
	ds_store_2addr_b32 v201, v32, v44 offset1:3
	v_sub_f16_e32 v49, v4, v7
	v_fma_f16 v1, v33, v252, -v1
	v_fmac_f16_e64 v2, v0, v252
	v_add_f16_e32 v0, v4, v7
	v_fmac_f16_e32 v42, 0x34f2, v8
	v_sub_f16_e32 v33, v24, v27
	v_add_f16_e32 v3, v1, v29
	v_add_f16_e32 v28, v25, v1
	v_fma_f16 v0, -0.5, v0, v25
	v_add_f16_e32 v31, v2, v27
	v_add_f16_e32 v32, v6, v2
	v_fmac_f16_e32 v25, -0.5, v3
	v_sub_f16_e32 v3, v4, v1
	v_add_f16_e32 v8, v28, v4
	v_sub_f16_e32 v51, v1, v29
	v_sub_f16_e32 v1, v1, v4
	;; [unrolled: 1-line block ×3, first 2 shown]
	v_add_f16_e32 v3, v3, v30
	v_add_f16_e32 v30, v5, v24
	;; [unrolled: 1-line block ×4, first 2 shown]
	v_sub_f16_e32 v7, v29, v7
	s_delay_alu instid0(VALU_DEP_4)
	v_fma_f16 v30, -0.5, v30, v6
	v_fmac_f16_e32 v6, -0.5, v31
	v_sub_f16_e32 v31, v5, v2
	v_sub_f16_e32 v2, v2, v5
	v_add_f16_e32 v4, v4, v29
	v_add_f16_e32 v1, v1, v7
	v_mad_u16 v7, v40, 15, v41
	v_add_f16_e32 v31, v31, v33
	v_sub_f16_e32 v33, v5, v24
	v_add_f16_e32 v5, v8, v24
	v_sub_f16_e32 v8, v27, v24
	v_fmamk_f16 v24, v51, 0xbb9c, v30
	v_fmac_f16_e32 v30, 0x3b9c, v51
	v_and_b32_e32 v7, 0xffff, v7
	v_add_f16_e32 v5, v5, v27
	v_add_f16_e32 v2, v2, v8
	v_pack_b32_f16 v8, v42, v46
	v_fmac_f16_e32 v30, 0x38b4, v49
	v_fmac_f16_e32 v24, 0xb8b4, v49
	v_pack_b32_f16 v4, v4, v5
	v_fmamk_f16 v5, v44, 0x3b9c, v0
	v_fmac_f16_e32 v0, 0xbb9c, v44
	v_fmac_f16_e32 v30, 0x34f2, v2
	v_lshlrev_b32_e32 v208, 2, v7
	v_fmamk_f16 v39, v33, 0xbb9c, v25
	v_fmac_f16_e32 v5, 0x38b4, v33
	v_fmac_f16_e32 v0, 0xb8b4, v33
	;; [unrolled: 1-line block ×3, first 2 shown]
	v_fmamk_f16 v50, v49, 0x3b9c, v6
	v_fmac_f16_e32 v6, 0xbb9c, v49
	v_fmac_f16_e32 v5, 0x34f2, v1
	;; [unrolled: 1-line block ×4, first 2 shown]
	ds_store_b32 v201, v8 offset:48
	v_fmac_f16_e32 v25, 0xb8b4, v44
	v_fmac_f16_e32 v6, 0x38b4, v51
	v_pack_b32_f16 v0, v0, v30
	v_pack_b32_f16 v5, v5, v24
	v_fmac_f16_e32 v39, 0x38b4, v44
	v_fmac_f16_e32 v25, 0x34f2, v3
	;; [unrolled: 1-line block ×3, first 2 shown]
	ds_store_b32 v208, v0 offset:48
	v_mul_lo_u16 v0, 0x89, v35
	v_fmac_f16_e32 v50, 0xb8b4, v51
	v_fmac_f16_e32 v39, 0x34f2, v3
	v_pack_b32_f16 v6, v25, v6
	ds_store_2addr_b32 v208, v4, v5 offset1:3
	v_lshrrev_b16 v24, 11, v0
	v_fmac_f16_e32 v50, 0x34f2, v31
	v_mul_u32_u24_e32 v40, 0x8889, v37
	s_delay_alu instid0(VALU_DEP_3) | instskip(NEXT) | instid1(VALU_DEP_3)
	v_mul_lo_u16 v0, v24, 15
	v_pack_b32_f16 v3, v39, v50
	v_and_b32_e32 v24, 0xffff, v24
	s_delay_alu instid0(VALU_DEP_4)
	v_lshrrev_b32_e32 v106, 19, v40
	v_mul_u32_u24_e32 v40, 0x8889, v36
	v_sub_nc_u16 v25, v251, v0
	v_mul_lo_u16 v0, 0x89, v70
	ds_store_2addr_b32 v208, v3, v6 offset0:6 offset1:9
	global_wb scope:SCOPE_SE
	s_wait_dscnt 0x0
	s_barrier_signal -1
	v_and_b32_e32 v1, 0xff, v25
	v_lshrrev_b16 v0, 11, v0
	s_barrier_wait -1
	global_inv scope:SCOPE_SE
	v_mul_u32_u24_e32 v24, 0x4b, v24
	v_lshlrev_b32_e32 v3, 4, v1
	v_mul_lo_u16 v2, v0, 15
	v_lshrrev_b32_e32 v107, 19, v40
	v_and_b32_e32 v0, 0xffff, v0
	v_add_lshl_u32 v210, v24, v1, 2
	s_delay_alu instid0(VALU_DEP_4) | instskip(NEXT) | instid1(VALU_DEP_3)
	v_sub_nc_u16 v2, v69, v2
	v_mul_u32_u24_e32 v0, 0x4b, v0
	s_delay_alu instid0(VALU_DEP_2) | instskip(NEXT) | instid1(VALU_DEP_1)
	v_and_b32_e32 v2, 0xff, v2
	v_lshlrev_b32_e32 v4, 4, v2
	s_clause 0x1
	global_load_b128 v[117:120], v3, s[6:7] offset:48
	global_load_b128 v[160:163], v4, s[6:7] offset:48
	ds_load_2addr_b32 v[25:26], v130 offset0:110 offset1:235
	ds_load_2addr_b32 v[27:28], v116 offset0:92 offset1:217
	;; [unrolled: 1-line block ×4, first 2 shown]
	v_add_lshl_u32 v214, v0, v2, 2
	s_wait_dscnt 0x3
	v_lshrrev_b32_e32 v3, 16, v25
	s_wait_dscnt 0x0
	v_lshrrev_b32_e32 v33, 16, v31
	s_wait_loadcnt 0x1
	v_lshrrev_b32_e32 v5, 16, v117
	v_lshrrev_b32_e32 v7, 16, v118
	;; [unrolled: 1-line block ×3, first 2 shown]
	s_delay_alu instid0(VALU_DEP_3) | instskip(NEXT) | instid1(VALU_DEP_3)
	v_mul_f16_e32 v4, v25, v5
	v_mul_f16_e32 v6, v27, v7
	s_delay_alu instid0(VALU_DEP_3) | instskip(NEXT) | instid1(VALU_DEP_3)
	v_mul_f16_e32 v8, v29, v9
	v_fmac_f16_e32 v4, v3, v117
	v_mul_f16_e32 v3, v3, v5
	v_lshrrev_b32_e32 v5, 16, v27
	s_delay_alu instid0(VALU_DEP_2) | instskip(NEXT) | instid1(VALU_DEP_2)
	v_fma_f16 v3, v25, v117, -v3
	v_fmac_f16_e32 v6, v5, v118
	v_mul_f16_e32 v5, v5, v7
	v_lshrrev_b32_e32 v7, 16, v29
	s_delay_alu instid0(VALU_DEP_2) | instskip(NEXT) | instid1(VALU_DEP_2)
	v_fma_f16 v5, v27, v118, -v5
	v_fmac_f16_e32 v8, v7, v119
	v_mul_f16_e32 v7, v7, v9
	v_lshrrev_b32_e32 v9, 16, v120
	s_delay_alu instid0(VALU_DEP_4) | instskip(NEXT) | instid1(VALU_DEP_4)
	v_sub_f16_e32 v25, v3, v5
	v_add_f16_e32 v39, v6, v8
	s_delay_alu instid0(VALU_DEP_4) | instskip(NEXT) | instid1(VALU_DEP_4)
	v_fma_f16 v7, v29, v119, -v7
	v_mul_f16_e32 v71, v31, v9
	v_sub_f16_e32 v92, v6, v8
	s_delay_alu instid0(VALU_DEP_3) | instskip(NEXT) | instid1(VALU_DEP_3)
	v_sub_f16_e32 v95, v5, v7
	v_fmac_f16_e32 v71, v33, v120
	v_mul_f16_e32 v33, v33, v9
	s_wait_loadcnt 0x0
	v_lshrrev_b32_e32 v9, 16, v162
	s_delay_alu instid0(VALU_DEP_3) | instskip(NEXT) | instid1(VALU_DEP_3)
	v_sub_f16_e32 v91, v4, v71
	v_fma_f16 v27, v31, v120, -v33
	v_sub_f16_e32 v31, v71, v8
	s_delay_alu instid0(VALU_DEP_2) | instskip(SKIP_1) | instid1(VALU_DEP_2)
	v_sub_f16_e32 v29, v27, v7
	v_sub_f16_e32 v94, v3, v27
	v_add_f16_e32 v29, v25, v29
	v_sub_f16_e32 v25, v4, v6
	s_delay_alu instid0(VALU_DEP_1)
	v_add_f16_e32 v31, v25, v31
	ds_load_2addr_b32 v[24:25], v165 offset1:125
	s_wait_dscnt 0x0
	v_lshrrev_b32_e32 v33, 16, v24
	v_add_f16_e32 v1, v24, v3
	v_lshrrev_b32_e32 v2, 16, v25
	s_delay_alu instid0(VALU_DEP_3) | instskip(NEXT) | instid1(VALU_DEP_3)
	v_add_f16_e32 v35, v33, v4
	v_add_f16_e32 v1, v1, v5
	v_fma_f16 v93, -0.5, v39, v33
	s_delay_alu instid0(VALU_DEP_3) | instskip(NEXT) | instid1(VALU_DEP_3)
	v_add_f16_e32 v35, v35, v6
	v_add_f16_e32 v1, v1, v7
	s_delay_alu instid0(VALU_DEP_3) | instskip(SKIP_1) | instid1(VALU_DEP_4)
	v_fmamk_f16 v39, v94, 0xbb9c, v93
	v_fmac_f16_e32 v93, 0x3b9c, v94
	v_add_f16_e32 v35, v35, v8
	s_delay_alu instid0(VALU_DEP_4) | instskip(NEXT) | instid1(VALU_DEP_4)
	v_add_f16_e32 v1, v1, v27
	v_fmac_f16_e32 v39, 0xb8b4, v95
	s_delay_alu instid0(VALU_DEP_4) | instskip(NEXT) | instid1(VALU_DEP_4)
	v_fmac_f16_e32 v93, 0x38b4, v95
	v_add_f16_e32 v35, v35, v71
	s_delay_alu instid0(VALU_DEP_3) | instskip(NEXT) | instid1(VALU_DEP_3)
	v_fmac_f16_e32 v39, 0x34f2, v31
	v_fmac_f16_e32 v93, 0x34f2, v31
	s_delay_alu instid0(VALU_DEP_3) | instskip(SKIP_1) | instid1(VALU_DEP_1)
	v_pack_b32_f16 v1, v1, v35
	v_add_f16_e32 v35, v5, v7
	v_fma_f16 v90, -0.5, v35, v24
	s_delay_alu instid0(VALU_DEP_1) | instskip(SKIP_1) | instid1(VALU_DEP_2)
	v_fmamk_f16 v35, v91, 0x3b9c, v90
	v_fmac_f16_e32 v90, 0xbb9c, v91
	v_fmac_f16_e32 v35, 0x38b4, v92
	s_delay_alu instid0(VALU_DEP_2) | instskip(NEXT) | instid1(VALU_DEP_2)
	v_fmac_f16_e32 v90, 0xb8b4, v92
	v_fmac_f16_e32 v35, 0x34f2, v29
	s_delay_alu instid0(VALU_DEP_2) | instskip(NEXT) | instid1(VALU_DEP_2)
	v_fmac_f16_e32 v90, 0x34f2, v29
	v_pack_b32_f16 v97, v35, v39
	v_mul_u32_u24_e32 v35, 0x8889, v38
	v_mul_u32_u24_e32 v38, 0x8889, v34
	s_delay_alu instid0(VALU_DEP_2) | instskip(NEXT) | instid1(VALU_DEP_2)
	v_lshrrev_b32_e32 v99, 19, v35
	v_lshrrev_b32_e32 v98, 19, v38
	s_delay_alu instid0(VALU_DEP_1) | instskip(NEXT) | instid1(VALU_DEP_1)
	v_mul_lo_u16 v35, v98, 15
	v_sub_nc_u16 v100, v72, v35
	s_delay_alu instid0(VALU_DEP_4) | instskip(NEXT) | instid1(VALU_DEP_1)
	v_mul_lo_u16 v35, v99, 15
	v_sub_nc_u16 v101, v96, v35
	s_delay_alu instid0(VALU_DEP_3) | instskip(NEXT) | instid1(VALU_DEP_2)
	v_lshlrev_b16 v35, 4, v100
	v_lshlrev_b16 v38, 4, v101
	s_delay_alu instid0(VALU_DEP_2) | instskip(NEXT) | instid1(VALU_DEP_2)
	v_and_b32_e32 v35, 0xffff, v35
	v_and_b32_e32 v39, 0xffff, v38
	s_delay_alu instid0(VALU_DEP_2) | instskip(SKIP_2) | instid1(VALU_DEP_3)
	v_add_co_u32 v37, s2, s6, v35
	s_wait_alu 0xf1ff
	v_add_co_ci_u32_e64 v38, null, s7, 0, s2
	v_add_co_u32 v35, s2, s6, v39
	v_mul_lo_u16 v39, v106, 15
	global_load_b128 v[121:124], v[37:38], off offset:48
	s_wait_alu 0xf1ff
	v_add_co_ci_u32_e64 v36, null, s7, 0, s2
	ds_load_2addr_b32 v[37:38], v156 offset0:122 offset1:247
	ds_load_2addr_b32 v[64:65], v224 offset0:104 offset1:229
	;; [unrolled: 1-line block ×10, first 2 shown]
	v_sub_nc_u16 v108, v111, v39
	v_mul_lo_u16 v39, v107, 15
	s_delay_alu instid0(VALU_DEP_1) | instskip(NEXT) | instid1(VALU_DEP_3)
	v_sub_nc_u16 v109, v112, v39
	v_lshlrev_b16 v39, 4, v108
	s_delay_alu instid0(VALU_DEP_2) | instskip(NEXT) | instid1(VALU_DEP_2)
	v_lshlrev_b16 v40, 4, v109
	v_and_b32_e32 v39, 0xffff, v39
	s_delay_alu instid0(VALU_DEP_2) | instskip(NEXT) | instid1(VALU_DEP_2)
	v_and_b32_e32 v41, 0xffff, v40
	v_add_co_u32 v39, s2, s6, v39
	s_wait_alu 0xf1ff
	v_add_co_ci_u32_e64 v40, null, s7, 0, s2
	s_delay_alu instid0(VALU_DEP_3)
	v_add_co_u32 v41, s2, s6, v41
	s_wait_alu 0xf1ff
	v_add_co_ci_u32_e64 v42, null, s7, 0, s2
	s_clause 0x2
	global_load_b128 v[195:198], v[35:36], off offset:48
	global_load_b128 v[146:149], v[39:40], off offset:48
	;; [unrolled: 1-line block ×3, first 2 shown]
	global_wb scope:SCOPE_SE
	s_wait_loadcnt_dscnt 0x0
	s_barrier_signal -1
	s_barrier_wait -1
	global_inv scope:SCOPE_SE
	ds_store_2addr_b32 v210, v1, v97 offset1:15
	v_sub_f16_e32 v1, v5, v3
	v_add_f16_e32 v3, v3, v27
	v_sub_f16_e32 v5, v7, v27
	v_lshrrev_b32_e32 v7, 16, v30
	s_delay_alu instid0(VALU_DEP_3) | instskip(NEXT) | instid1(VALU_DEP_3)
	v_fma_f16 v3, -0.5, v3, v24
	v_add_f16_e32 v1, v1, v5
	v_add_f16_e32 v5, v4, v71
	v_sub_f16_e32 v4, v6, v4
	v_mul_f16_e32 v24, v30, v9
	v_fmamk_f16 v6, v92, 0xbb9c, v3
	v_fmac_f16_e32 v3, 0x3b9c, v92
	v_fmac_f16_e32 v33, -0.5, v5
	v_sub_f16_e32 v5, v8, v71
	v_mul_f16_e32 v8, v7, v9
	v_fmac_f16_e32 v6, 0x38b4, v91
	v_fmac_f16_e32 v3, 0xb8b4, v91
	v_lshrrev_b32_e32 v9, 16, v163
	v_fmac_f16_e64 v24, v7, v162
	v_fma_f16 v8, v30, v162, -v8
	v_fmac_f16_e32 v6, 0x34f2, v1
	v_fmac_f16_e32 v3, 0x34f2, v1
	v_add_f16_e32 v1, v4, v5
	v_fmamk_f16 v4, v95, 0x3b9c, v33
	v_fmac_f16_e32 v33, 0xbb9c, v95
	s_delay_alu instid0(VALU_DEP_2) | instskip(NEXT) | instid1(VALU_DEP_2)
	v_fmac_f16_e32 v4, 0xb8b4, v94
	v_fmac_f16_e32 v33, 0x38b4, v94
	s_delay_alu instid0(VALU_DEP_2) | instskip(NEXT) | instid1(VALU_DEP_2)
	v_fmac_f16_e32 v4, 0x34f2, v1
	v_fmac_f16_e32 v33, 0x34f2, v1
	s_delay_alu instid0(VALU_DEP_2) | instskip(NEXT) | instid1(VALU_DEP_2)
	v_pack_b32_f16 v1, v6, v4
	v_pack_b32_f16 v3, v3, v33
	v_lshrrev_b32_e32 v4, 16, v160
	v_lshrrev_b32_e32 v6, 16, v161
	ds_store_2addr_b32 v210, v1, v3 offset0:30 offset1:45
	v_lshrrev_b32_e32 v1, 16, v26
	s_delay_alu instid0(VALU_DEP_1) | instskip(SKIP_1) | instid1(VALU_DEP_2)
	v_mul_f16_e32 v3, v1, v4
	v_mul_f16_e32 v4, v26, v4
	v_fma_f16 v3, v26, v160, -v3
	s_delay_alu instid0(VALU_DEP_2) | instskip(SKIP_2) | instid1(VALU_DEP_4)
	v_fmac_f16_e64 v4, v1, v160
	v_lshrrev_b32_e32 v1, 16, v28
	v_lshrrev_b32_e32 v26, 16, v32
	v_add_f16_e32 v0, v25, v3
	s_delay_alu instid0(VALU_DEP_4) | instskip(NEXT) | instid1(VALU_DEP_4)
	v_add_f16_e32 v29, v2, v4
	v_mul_f16_e32 v5, v1, v6
	v_mul_f16_e32 v6, v28, v6
	;; [unrolled: 1-line block ×3, first 2 shown]
	s_delay_alu instid0(VALU_DEP_3) | instskip(NEXT) | instid1(VALU_DEP_3)
	v_fma_f16 v5, v28, v161, -v5
	v_fmac_f16_e64 v6, v1, v161
	v_mul_f16_e32 v28, v32, v9
	s_delay_alu instid0(VALU_DEP_4) | instskip(NEXT) | instid1(VALU_DEP_4)
	v_fma_f16 v27, v32, v163, -v27
	v_add_f16_e32 v0, v0, v5
	s_delay_alu instid0(VALU_DEP_4) | instskip(NEXT) | instid1(VALU_DEP_4)
	v_add_f16_e32 v29, v29, v6
	v_fmac_f16_e64 v28, v26, v163
	v_add_f16_e32 v33, v6, v24
	v_sub_f16_e32 v1, v3, v5
	v_add_f16_e32 v0, v0, v8
	v_add_f16_e32 v29, v29, v24
	v_sub_f16_e32 v7, v27, v8
	v_sub_f16_e32 v30, v4, v28
	v_fma_f16 v33, -0.5, v33, v2
	v_add_f16_e32 v0, v0, v27
	v_add_f16_e32 v29, v29, v28
	v_sub_f16_e32 v35, v3, v27
	v_add_f16_e32 v1, v1, v7
	v_sub_f16_e32 v7, v4, v6
	v_sub_f16_e32 v26, v28, v24
	v_pack_b32_f16 v0, v0, v29
	v_add_f16_e32 v29, v5, v8
	v_sub_f16_e32 v32, v6, v24
	v_fmamk_f16 v36, v35, 0xbb9c, v33
	v_sub_f16_e32 v39, v5, v8
	v_add_f16_e32 v7, v7, v26
	v_fma_f16 v29, -0.5, v29, v25
	v_pack_b32_f16 v26, v90, v93
	v_sub_f16_e32 v6, v6, v4
	v_fmac_f16_e32 v36, 0xb8b4, v39
	v_add_f16_e32 v4, v4, v28
	v_fmamk_f16 v31, v30, 0x3b9c, v29
	v_fmac_f16_e32 v29, 0xbb9c, v30
	v_fmac_f16_e32 v33, 0x3b9c, v35
	;; [unrolled: 1-line block ×3, first 2 shown]
	v_fmac_f16_e32 v2, -0.5, v4
	v_fmac_f16_e32 v31, 0x38b4, v32
	v_fmac_f16_e32 v29, 0xb8b4, v32
	;; [unrolled: 1-line block ×3, first 2 shown]
	s_delay_alu instid0(VALU_DEP_3) | instskip(NEXT) | instid1(VALU_DEP_3)
	v_fmac_f16_e32 v31, 0x34f2, v1
	v_fmac_f16_e32 v29, 0x34f2, v1
	s_delay_alu instid0(VALU_DEP_3) | instskip(NEXT) | instid1(VALU_DEP_3)
	v_fmac_f16_e32 v33, 0x34f2, v7
	v_pack_b32_f16 v31, v31, v36
	ds_store_b32 v210, v26 offset:240
	ds_store_2addr_b32 v214, v0, v31 offset1:15
	v_sub_f16_e32 v0, v5, v3
	v_add_f16_e32 v3, v3, v27
	v_sub_f16_e32 v5, v8, v27
	v_sub_f16_e32 v8, v24, v28
	v_lshrrev_b32_e32 v27, 16, v37
	s_delay_alu instid0(VALU_DEP_4) | instskip(NEXT) | instid1(VALU_DEP_4)
	v_fmac_f16_e32 v25, -0.5, v3
	v_add_f16_e32 v0, v0, v5
	v_fmamk_f16 v5, v39, 0x3b9c, v2
	v_fmac_f16_e32 v2, 0xbb9c, v39
	v_add_f16_e32 v3, v6, v8
	v_fmamk_f16 v4, v32, 0xbb9c, v25
	v_fmac_f16_e32 v25, 0x3b9c, v32
	v_fmac_f16_e32 v5, 0xb8b4, v35
	;; [unrolled: 1-line block ×3, first 2 shown]
	s_delay_alu instid0(VALU_DEP_4) | instskip(NEXT) | instid1(VALU_DEP_4)
	v_fmac_f16_e32 v4, 0x38b4, v30
	v_fmac_f16_e32 v25, 0xb8b4, v30
	s_delay_alu instid0(VALU_DEP_4) | instskip(NEXT) | instid1(VALU_DEP_4)
	v_fmac_f16_e32 v5, 0x34f2, v3
	v_fmac_f16_e32 v2, 0x34f2, v3
	;; [unrolled: 3-line block ×3, first 2 shown]
	s_delay_alu instid0(VALU_DEP_2) | instskip(NEXT) | instid1(VALU_DEP_2)
	v_pack_b32_f16 v0, v4, v5
	v_pack_b32_f16 v2, v25, v2
	ds_store_2addr_b32 v214, v0, v2 offset0:30 offset1:45
	v_lshrrev_b32_e32 v0, 16, v64
	v_lshrrev_b32_e32 v2, 16, v121
	;; [unrolled: 1-line block ×5, first 2 shown]
	s_delay_alu instid0(VALU_DEP_4) | instskip(NEXT) | instid1(VALU_DEP_4)
	v_mul_f16_e32 v1, v64, v2
	v_mul_f16_e32 v3, v74, v4
	s_delay_alu instid0(VALU_DEP_4) | instskip(NEXT) | instid1(VALU_DEP_4)
	v_mul_f16_e32 v5, v76, v6
	v_mul_f16_e32 v7, v78, v8
	s_delay_alu instid0(VALU_DEP_4) | instskip(SKIP_2) | instid1(VALU_DEP_3)
	v_fmac_f16_e32 v1, v0, v121
	v_mul_f16_e32 v0, v0, v2
	v_lshrrev_b32_e32 v2, 16, v74
	v_add_f16_e32 v28, v27, v1
	s_delay_alu instid0(VALU_DEP_3) | instskip(NEXT) | instid1(VALU_DEP_3)
	v_fma_f16 v0, v64, v121, -v0
	v_fmac_f16_e32 v3, v2, v122
	v_mul_f16_e32 v2, v2, v4
	v_lshrrev_b32_e32 v4, 16, v76
	s_delay_alu instid0(VALU_DEP_3) | instskip(NEXT) | instid1(VALU_DEP_3)
	v_sub_f16_e32 v25, v1, v3
	v_fma_f16 v2, v74, v122, -v2
	s_delay_alu instid0(VALU_DEP_3)
	v_fmac_f16_e32 v5, v4, v123
	v_mul_f16_e32 v4, v4, v6
	v_lshrrev_b32_e32 v6, 16, v78
	v_add_f16_e32 v28, v28, v3
	v_lshrrev_b32_e32 v9, 16, v198
	v_sub_f16_e32 v31, v3, v5
	v_fma_f16 v4, v76, v123, -v4
	v_fmac_f16_e32 v7, v6, v124
	v_mul_f16_e32 v6, v6, v8
	v_add_f16_e32 v28, v28, v5
	v_sub_f16_e32 v8, v0, v2
	v_sub_f16_e32 v36, v2, v4
	;; [unrolled: 1-line block ×3, first 2 shown]
	v_fma_f16 v6, v78, v124, -v6
	v_add_f16_e32 v28, v28, v7
	v_add_f16_e32 v32, v3, v5
	v_lshrrev_b32_e32 v238, 16, v166
	v_add_f16_e32 v25, v25, v26
	v_add_f16_e32 v26, v37, v0
	v_sub_f16_e32 v24, v6, v4
	v_fma_f16 v32, -0.5, v32, v27
	v_lshrrev_b32_e32 v249, 16, v169
	s_delay_alu instid0(VALU_DEP_4) | instskip(NEXT) | instid1(VALU_DEP_4)
	v_add_f16_e32 v26, v26, v2
	v_add_f16_e32 v8, v8, v24
	v_pack_b32_f16 v24, v29, v33
	v_sub_f16_e32 v33, v0, v6
	v_sub_f16_e32 v29, v1, v7
	v_add_f16_e32 v26, v26, v4
	ds_store_b32 v214, v24 offset:240
	v_mad_u16 v24, 0x4b, v98, v100
	v_fmamk_f16 v35, v33, 0xbb9c, v32
	v_add_f16_e32 v26, v26, v6
	v_fmac_f16_e32 v32, 0x3b9c, v33
	v_mov_b32_e32 v100, v66
	v_and_b32_e32 v24, 0xffff, v24
	v_fmac_f16_e32 v35, 0xb8b4, v36
	v_pack_b32_f16 v26, v26, v28
	v_add_f16_e32 v28, v2, v4
	v_sub_f16_e32 v2, v2, v0
	v_sub_f16_e32 v4, v4, v6
	v_add_f16_e32 v0, v0, v6
	v_lshlrev_b32_e32 v220, 2, v24
	v_fma_f16 v28, -0.5, v28, v37
	v_fmac_f16_e32 v35, 0x34f2, v25
	v_add_f16_e32 v2, v2, v4
	v_add_f16_e32 v4, v1, v7
	v_fma_f16 v0, -0.5, v0, v37
	v_sub_f16_e32 v1, v3, v1
	v_sub_f16_e32 v3, v5, v7
	v_fmamk_f16 v30, v29, 0x3b9c, v28
	v_fmac_f16_e32 v27, -0.5, v4
	v_fmamk_f16 v4, v31, 0xbb9c, v0
	v_fmac_f16_e32 v0, 0x3b9c, v31
	v_add_f16_e32 v1, v1, v3
	v_fmac_f16_e32 v30, 0x38b4, v31
	v_lshrrev_b32_e32 v5, 16, v77
	v_fmac_f16_e32 v4, 0x38b4, v29
	v_fmac_f16_e32 v0, 0xb8b4, v29
	v_lshrrev_b32_e32 v7, 16, v197
	v_fmac_f16_e32 v30, 0x34f2, v8
	v_lshrrev_b32_e32 v24, 16, v79
	v_fmac_f16_e32 v4, 0x34f2, v2
	v_fmac_f16_e32 v0, 0x34f2, v2
	v_fmamk_f16 v2, v36, 0x3b9c, v27
	v_fmac_f16_e32 v27, 0xbb9c, v36
	v_pack_b32_f16 v30, v30, v35
	v_mul_f16_e32 v6, v5, v7
	v_mul_f16_e32 v7, v77, v7
	v_fmac_f16_e32 v2, 0xb8b4, v33
	v_fmac_f16_e32 v27, 0x38b4, v33
	ds_store_2addr_b32 v220, v26, v30 offset1:15
	v_fmac_f16_e32 v28, 0xbb9c, v29
	v_mul_f16_e32 v26, v24, v9
	v_fmac_f16_e32 v2, 0x34f2, v1
	v_fmac_f16_e32 v27, 0x34f2, v1
	v_fma_f16 v6, v77, v197, -v6
	v_fmac_f16_e32 v28, 0xb8b4, v31
	v_fma_f16 v26, v79, v198, -v26
	v_pack_b32_f16 v1, v4, v2
	v_pack_b32_f16 v0, v0, v27
	v_lshrrev_b32_e32 v2, 16, v195
	v_lshrrev_b32_e32 v4, 16, v196
	v_mul_f16_e32 v27, v79, v9
	v_fmac_f16_e32 v32, 0x38b4, v36
	ds_store_2addr_b32 v220, v1, v0 offset0:30 offset1:45
	v_lshrrev_b32_e32 v0, 16, v65
	v_fmac_f16_e64 v7, v5, v197
	v_fmac_f16_e64 v27, v24, v198
	v_fmac_f16_e32 v28, 0x34f2, v8
	v_fmac_f16_e32 v32, 0x34f2, v25
	v_mul_f16_e32 v1, v0, v2
	v_mul_f16_e32 v2, v65, v2
	v_sub_f16_e32 v5, v26, v6
	v_sub_f16_e32 v24, v27, v7
	v_lshrrev_b32_e32 v25, 16, v38
	v_fma_f16 v1, v65, v195, -v1
	v_fmac_f16_e64 v2, v0, v195
	v_lshrrev_b32_e32 v0, 16, v75
	s_delay_alu instid0(VALU_DEP_3) | instskip(NEXT) | instid1(VALU_DEP_3)
	v_sub_f16_e32 v33, v1, v26
	v_sub_f16_e32 v29, v2, v27
	s_delay_alu instid0(VALU_DEP_3) | instskip(SKIP_1) | instid1(VALU_DEP_2)
	v_mul_f16_e32 v3, v0, v4
	v_mul_f16_e32 v4, v75, v4
	v_fma_f16 v3, v75, v196, -v3
	s_delay_alu instid0(VALU_DEP_2) | instskip(NEXT) | instid1(VALU_DEP_2)
	v_fmac_f16_e64 v4, v0, v196
	v_sub_f16_e32 v0, v1, v3
	s_delay_alu instid0(VALU_DEP_2) | instskip(SKIP_2) | instid1(VALU_DEP_4)
	v_sub_f16_e32 v8, v2, v4
	v_sub_f16_e32 v31, v4, v7
	;; [unrolled: 1-line block ×3, first 2 shown]
	v_add_f16_e32 v0, v0, v5
	v_pack_b32_f16 v5, v28, v32
	v_add_f16_e32 v8, v8, v24
	v_add_f16_e32 v24, v38, v1
	;; [unrolled: 1-line block ×4, first 2 shown]
	ds_store_b32 v220, v5 offset:240
	v_mad_u16 v5, 0x4b, v99, v101
	v_add_f16_e32 v24, v24, v3
	v_add_f16_e32 v28, v28, v4
	v_sub_f16_e32 v4, v4, v2
	v_add_f16_e32 v2, v2, v27
	v_and_b32_e32 v5, 0xffff, v5
	v_add_f16_e32 v24, v24, v6
	v_add_f16_e32 v28, v28, v7
	v_fma_f16 v32, -0.5, v32, v25
	v_fmac_f16_e32 v25, -0.5, v2
	v_lshlrev_b32_e32 v227, 2, v5
	v_add_f16_e32 v24, v24, v26
	v_add_f16_e32 v28, v28, v27
	v_sub_f16_e32 v5, v6, v26
	v_fmamk_f16 v35, v33, 0xbb9c, v32
	v_fmac_f16_e32 v32, 0x3b9c, v33
	v_mov_b32_e32 v101, v67
	v_pack_b32_f16 v24, v24, v28
	v_add_f16_e32 v28, v3, v6
	v_sub_f16_e32 v3, v3, v1
	v_add_f16_e32 v1, v1, v26
	v_sub_f16_e32 v6, v7, v27
	v_fmac_f16_e32 v35, 0xb8b4, v36
	v_fma_f16 v28, -0.5, v28, v38
	v_fmac_f16_e32 v32, 0x38b4, v36
	v_fmac_f16_e32 v38, -0.5, v1
	v_add_f16_e32 v1, v3, v5
	v_add_f16_e32 v2, v4, v6
	v_fmamk_f16 v4, v36, 0x3b9c, v25
	v_fmac_f16_e32 v25, 0xbb9c, v36
	v_fmamk_f16 v3, v31, 0xbb9c, v38
	v_fmac_f16_e32 v38, 0x3b9c, v31
	;; [unrolled: 2-line block ×3, first 2 shown]
	v_fmac_f16_e32 v25, 0x38b4, v33
	v_fmac_f16_e32 v3, 0x38b4, v29
	v_fmac_f16_e32 v38, 0xb8b4, v29
	v_fmac_f16_e32 v28, 0xbb9c, v29
	v_fmac_f16_e32 v4, 0x34f2, v2
	v_fmac_f16_e32 v25, 0x34f2, v2
	v_fmac_f16_e32 v3, 0x34f2, v1
	v_fmac_f16_e32 v38, 0x34f2, v1
	v_fmac_f16_e32 v30, 0x38b4, v31
	v_fmac_f16_e32 v28, 0xb8b4, v31
	v_lshrrev_b32_e32 v2, 16, v146
	v_pack_b32_f16 v1, v3, v4
	v_pack_b32_f16 v5, v38, v25
	v_fmac_f16_e32 v30, 0x34f2, v0
	v_fmac_f16_e32 v28, 0x34f2, v0
	v_lshrrev_b32_e32 v0, 16, v82
	v_lshrrev_b32_e32 v4, 16, v147
	ds_store_2addr_b32 v227, v1, v5 offset0:30 offset1:45
	v_mul_f16_e32 v1, v82, v2
	v_lshrrev_b32_e32 v6, 16, v148
	v_fmac_f16_e32 v35, 0x34f2, v8
	v_mul_f16_e32 v3, v84, v4
	v_fmac_f16_e32 v32, 0x34f2, v8
	v_fmac_f16_e64 v1, v0, v146
	v_mul_f16_e32 v0, v0, v2
	v_lshrrev_b32_e32 v2, 16, v84
	v_mul_f16_e32 v5, v86, v6
	v_lshrrev_b32_e32 v8, 16, v149
	v_pack_b32_f16 v30, v30, v35
	v_fma_f16 v0, v82, v146, -v0
	v_fmac_f16_e64 v3, v2, v147
	v_mul_f16_e32 v2, v2, v4
	v_lshrrev_b32_e32 v4, 16, v86
	v_mul_f16_e32 v7, v88, v8
	ds_store_2addr_b32 v227, v24, v30 offset1:15
	v_sub_f16_e32 v25, v1, v3
	v_fma_f16 v2, v84, v147, -v2
	v_fmac_f16_e64 v5, v4, v148
	v_mul_f16_e32 v4, v4, v6
	v_lshrrev_b32_e32 v6, 16, v88
	v_lshrrev_b32_e32 v27, 16, v80
	s_delay_alu instid0(VALU_DEP_4) | instskip(NEXT) | instid1(VALU_DEP_4)
	v_sub_f16_e32 v31, v3, v5
	v_fma_f16 v4, v86, v148, -v4
	s_delay_alu instid0(VALU_DEP_4) | instskip(SKIP_2) | instid1(VALU_DEP_4)
	v_fmac_f16_e64 v7, v6, v149
	v_mul_f16_e32 v6, v6, v8
	v_sub_f16_e32 v8, v0, v2
	v_sub_f16_e32 v36, v2, v4
	s_delay_alu instid0(VALU_DEP_4) | instskip(NEXT) | instid1(VALU_DEP_4)
	v_sub_f16_e32 v26, v7, v5
	v_fma_f16 v6, v88, v149, -v6
	v_sub_f16_e32 v29, v1, v7
	s_delay_alu instid0(VALU_DEP_3) | instskip(NEXT) | instid1(VALU_DEP_3)
	v_add_f16_e32 v25, v25, v26
	v_sub_f16_e32 v24, v6, v4
	v_add_f16_e32 v26, v80, v0
	v_sub_f16_e32 v33, v0, v6
	s_delay_alu instid0(VALU_DEP_3)
	v_add_f16_e32 v8, v8, v24
	v_pack_b32_f16 v24, v28, v32
	v_add_f16_e32 v28, v27, v1
	v_add_f16_e32 v26, v26, v2
	;; [unrolled: 1-line block ×3, first 2 shown]
	ds_store_b32 v227, v24 offset:240
	v_add_f16_e32 v28, v28, v3
	v_add_f16_e32 v26, v26, v4
	v_fma_f16 v32, -0.5, v32, v27
	v_mad_u16 v24, 0x4b, v106, v108
	s_delay_alu instid0(VALU_DEP_4) | instskip(NEXT) | instid1(VALU_DEP_4)
	v_add_f16_e32 v28, v28, v5
	v_add_f16_e32 v26, v26, v6
	s_delay_alu instid0(VALU_DEP_4) | instskip(NEXT) | instid1(VALU_DEP_4)
	v_fmamk_f16 v35, v33, 0xbb9c, v32
	v_and_b32_e32 v24, 0xffff, v24
	v_fmac_f16_e32 v32, 0x3b9c, v33
	v_add_f16_e32 v28, v28, v7
	s_delay_alu instid0(VALU_DEP_4) | instskip(NEXT) | instid1(VALU_DEP_4)
	v_fmac_f16_e32 v35, 0xb8b4, v36
	v_lshlrev_b32_e32 v235, 2, v24
	v_lshrrev_b32_e32 v24, 16, v89
	s_delay_alu instid0(VALU_DEP_4)
	v_pack_b32_f16 v26, v26, v28
	v_add_f16_e32 v28, v2, v4
	v_sub_f16_e32 v2, v2, v0
	v_sub_f16_e32 v4, v4, v6
	v_add_f16_e32 v0, v0, v6
	v_fmac_f16_e32 v35, 0x34f2, v25
	v_fma_f16 v28, -0.5, v28, v80
	v_fmac_f16_e32 v32, 0x38b4, v36
	v_add_f16_e32 v2, v2, v4
	v_add_f16_e32 v4, v1, v7
	v_fma_f16 v0, -0.5, v0, v80
	v_sub_f16_e32 v1, v3, v1
	v_sub_f16_e32 v3, v5, v7
	v_fmamk_f16 v30, v29, 0x3b9c, v28
	v_fmac_f16_e32 v27, -0.5, v4
	v_fmamk_f16 v4, v31, 0xbb9c, v0
	v_fmac_f16_e32 v0, 0x3b9c, v31
	v_add_f16_e32 v1, v1, v3
	v_fmac_f16_e32 v30, 0x38b4, v31
	v_lshrrev_b32_e32 v5, 16, v87
	v_fmac_f16_e32 v4, 0x38b4, v29
	v_fmac_f16_e32 v0, 0xb8b4, v29
	v_lshrrev_b32_e32 v7, 16, v168
	v_fmac_f16_e32 v30, 0x34f2, v8
	v_fmac_f16_e32 v28, 0xbb9c, v29
	;; [unrolled: 1-line block ×4, first 2 shown]
	v_fmamk_f16 v2, v36, 0x3b9c, v27
	v_fmac_f16_e32 v27, 0xbb9c, v36
	v_pack_b32_f16 v30, v30, v35
	v_mul_f16_e32 v6, v5, v7
	v_mul_f16_e32 v7, v87, v7
	v_fmac_f16_e32 v2, 0xb8b4, v33
	v_fmac_f16_e32 v27, 0x38b4, v33
	ds_store_2addr_b32 v235, v26, v30 offset1:15
	v_mul_f16_e64 v26, v24, v249
	v_fma_f16 v6, v87, v168, -v6
	v_fmac_f16_e32 v2, 0x34f2, v1
	v_fmac_f16_e32 v27, 0x34f2, v1
	;; [unrolled: 1-line block ×3, first 2 shown]
	v_fma_f16 v26, v89, v169, -v26
	v_fmac_f16_e64 v7, v5, v168
	v_pack_b32_f16 v1, v4, v2
	v_pack_b32_f16 v0, v0, v27
	v_mul_f16_e64 v2, v83, v238
	v_lshrrev_b32_e32 v4, 16, v167
	v_mul_f16_e64 v27, v89, v249
	v_fmac_f16_e32 v28, 0x34f2, v8
	ds_store_2addr_b32 v235, v1, v0 offset0:30 offset1:45
	v_lshrrev_b32_e32 v0, 16, v83
	v_fmac_f16_e32 v32, 0x34f2, v25
	v_fmac_f16_e64 v27, v24, v169
	v_sub_f16_e32 v5, v26, v6
	v_lshrrev_b32_e32 v25, 16, v81
	v_mul_f16_e64 v1, v0, v238
	v_fmac_f16_e64 v2, v0, v166
	v_lshrrev_b32_e32 v0, 16, v85
	v_sub_f16_e32 v24, v27, v7
	s_delay_alu instid0(VALU_DEP_4) | instskip(NEXT) | instid1(VALU_DEP_4)
	v_fma_f16 v1, v83, v166, -v1
	v_sub_f16_e32 v29, v2, v27
	s_delay_alu instid0(VALU_DEP_4) | instskip(SKIP_1) | instid1(VALU_DEP_4)
	v_mul_f16_e32 v3, v0, v4
	v_mul_f16_e32 v4, v85, v4
	v_sub_f16_e32 v33, v1, v26
	s_delay_alu instid0(VALU_DEP_3) | instskip(NEXT) | instid1(VALU_DEP_3)
	v_fma_f16 v3, v85, v167, -v3
	v_fmac_f16_e64 v4, v0, v167
	s_delay_alu instid0(VALU_DEP_2) | instskip(NEXT) | instid1(VALU_DEP_2)
	v_sub_f16_e32 v0, v1, v3
	v_sub_f16_e32 v8, v2, v4
	v_sub_f16_e32 v31, v4, v7
	v_sub_f16_e32 v36, v3, v6
	s_delay_alu instid0(VALU_DEP_4)
	v_add_f16_e32 v0, v0, v5
	v_pack_b32_f16 v5, v28, v32
	v_add_f16_e32 v8, v8, v24
	v_add_f16_e32 v24, v81, v1
	;; [unrolled: 1-line block ×4, first 2 shown]
	ds_store_b32 v235, v5 offset:240
	v_mad_u16 v5, 0x4b, v107, v109
	v_add_f16_e32 v24, v24, v3
	v_add_f16_e32 v28, v28, v4
	v_fma_f16 v32, -0.5, v32, v25
	v_sub_f16_e32 v4, v4, v2
	v_and_b32_e32 v5, 0xffff, v5
	v_add_f16_e32 v24, v24, v6
	v_add_f16_e32 v28, v28, v7
	v_fmamk_f16 v35, v33, 0xbb9c, v32
	v_add_f16_e32 v2, v2, v27
	v_fmac_f16_e32 v32, 0x3b9c, v33
	v_add_f16_e32 v24, v24, v26
	v_add_f16_e32 v28, v28, v27
	v_lshlrev_b32_e32 v239, 2, v5
	v_sub_f16_e32 v5, v6, v26
	v_fmac_f16_e32 v25, -0.5, v2
	v_fmac_f16_e32 v32, 0x38b4, v36
	v_pack_b32_f16 v24, v24, v28
	v_add_f16_e32 v28, v3, v6
	v_sub_f16_e32 v3, v3, v1
	v_add_f16_e32 v1, v1, v26
	v_sub_f16_e32 v6, v7, v27
	v_fmac_f16_e32 v32, 0x34f2, v8
	v_fma_f16 v28, -0.5, v28, v81
	v_fmac_f16_e32 v35, 0xb8b4, v36
	v_fmac_f16_e32 v81, -0.5, v1
	v_add_f16_e32 v1, v3, v5
	v_add_f16_e32 v2, v4, v6
	v_fmamk_f16 v30, v29, 0x3b9c, v28
	v_fmac_f16_e32 v28, 0xbb9c, v29
	v_fmamk_f16 v3, v31, 0xbb9c, v81
	v_fmac_f16_e32 v81, 0x3b9c, v31
	;; [unrolled: 2-line block ×3, first 2 shown]
	v_fmac_f16_e32 v28, 0xb8b4, v31
	v_fmac_f16_e32 v25, 0xbb9c, v36
	;; [unrolled: 1-line block ×10, first 2 shown]
	v_pack_b32_f16 v0, v28, v32
	v_fmac_f16_e32 v25, 0x34f2, v2
	v_fmac_f16_e32 v4, 0x34f2, v2
	;; [unrolled: 1-line block ×3, first 2 shown]
	ds_store_b32 v239, v0 offset:240
	v_mul_u32_u24_e32 v0, 0xb4e9, v34
	v_pack_b32_f16 v5, v81, v25
	v_pack_b32_f16 v1, v3, v4
	;; [unrolled: 1-line block ×3, first 2 shown]
	s_delay_alu instid0(VALU_DEP_4)
	v_lshrrev_b32_e32 v0, 16, v0
	ds_store_2addr_b32 v239, v1, v5 offset0:30 offset1:45
	ds_store_2addr_b32 v239, v24, v30 offset1:15
	global_wb scope:SCOPE_SE
	s_wait_dscnt 0x0
	v_sub_nc_u16 v1, v72, v0
	s_barrier_signal -1
	s_barrier_wait -1
	global_inv scope:SCOPE_SE
	v_lshrrev_b16 v1, 1, v1
	s_delay_alu instid0(VALU_DEP_1) | instskip(SKIP_1) | instid1(VALU_DEP_2)
	v_add_nc_u16 v0, v1, v0
	v_add_nc_u32_e32 v1, 0xffffffb5, v164
	v_lshrrev_b16 v73, 6, v0
	s_delay_alu instid0(VALU_DEP_2) | instskip(NEXT) | instid1(VALU_DEP_2)
	v_cndmask_b32_e32 v83, v1, v164, vcc_lo
	v_mul_lo_u16 v0, 0x4b, v73
	s_delay_alu instid0(VALU_DEP_2) | instskip(SKIP_1) | instid1(VALU_DEP_3)
	v_mul_i32_i24_e32 v1, 36, v83
	v_mul_hi_i32_i24_e32 v2, 36, v83
	v_sub_nc_u16 v71, v72, v0
	s_delay_alu instid0(VALU_DEP_3) | instskip(SKIP_1) | instid1(VALU_DEP_3)
	v_add_co_u32 v24, vcc_lo, s6, v1
	s_wait_alu 0xfffd
	v_add_co_ci_u32_e32 v25, vcc_lo, s7, v2, vcc_lo
	s_delay_alu instid0(VALU_DEP_3) | instskip(SKIP_1) | instid1(VALU_DEP_2)
	v_mul_lo_u16 v0, v71, 36
	v_cmp_lt_u16_e64 vcc_lo, 0x4a, v251
	v_and_b32_e32 v0, 0xffff, v0
	s_delay_alu instid0(VALU_DEP_1)
	v_add_co_u32 v26, s2, s6, v0
	s_wait_alu 0xf1ff
	v_add_co_ci_u32_e64 v27, null, s7, 0, s2
	s_clause 0x2
	global_load_b32 v187, v[26:27], off offset:320
	global_load_b128 v[177:180], v[26:27], off offset:288
	global_load_b128 v[170:173], v[26:27], off offset:304
	ds_load_2addr_b32 v[27:28], v67 offset0:86 offset1:211
	ds_load_2addr_b32 v[64:65], v224 offset0:104 offset1:229
	;; [unrolled: 1-line block ×9, first 2 shown]
	s_add_nc_u64 s[2:3], s[4:5], 0x3a98
	s_wait_dscnt 0x8
	v_lshrrev_b32_e32 v0, 16, v27
	v_lshrrev_b32_e32 v6, 16, v28
	s_wait_dscnt 0x5
	v_lshrrev_b32_e32 v98, 16, v84
	s_wait_dscnt 0x3
	v_lshrrev_b32_e32 v14, 16, v131
	s_wait_loadcnt 0x2
	v_lshrrev_b32_e32 v4, 16, v187
	s_wait_loadcnt 0x1
	v_lshrrev_b32_e32 v1, 16, v180
	v_lshrrev_b32_e32 v2, 16, v178
	s_wait_loadcnt 0x0
	v_lshrrev_b32_e32 v3, 16, v173
	s_wait_dscnt 0x0
	v_mul_f16_e64 v182, v226, v4
	v_mul_f16_e32 v74, v27, v1
	v_mul_f16_e32 v75, v64, v2
	s_delay_alu instid0(VALU_DEP_2) | instskip(SKIP_2) | instid1(VALU_DEP_2)
	v_fmac_f16_e64 v74, v0, v180
	v_mul_f16_e32 v0, v0, v1
	v_lshrrev_b32_e32 v1, 16, v64
	v_fma_f16 v82, v27, v180, -v0
	ds_load_2addr_b32 v[26:27], v66 offset0:50 offset1:175
	s_clause 0x1
	global_load_b128 v[88:91], v[24:25], off offset:288
	global_load_b128 v[76:79], v[24:25], off offset:304
	v_fmac_f16_e64 v75, v1, v178
	v_mul_f16_e32 v1, v1, v2
	v_lshrrev_b32_e32 v2, 16, v171
	v_lshrrev_b32_e32 v0, 16, v29
	global_load_b32 v106, v[24:25], off offset:320
	v_fma_f16 v64, v64, v178, -v1
	v_mul_f16_e32 v80, v29, v2
	s_delay_alu instid0(VALU_DEP_2) | instskip(NEXT) | instid1(VALU_DEP_2)
	v_add_f16_e32 v110, v84, v64
	v_fmac_f16_e64 v80, v0, v171
	v_mul_f16_e32 v0, v0, v2
	s_delay_alu instid0(VALU_DEP_2) | instskip(SKIP_4) | instid1(VALU_DEP_2)
	v_sub_f16_e32 v113, v74, v80
	s_wait_dscnt 0x0
	v_lshrrev_b32_e32 v2, 16, v26
	v_mul_f16_e32 v81, v26, v3
	v_fma_f16 v52, v29, v171, -v0
	v_fmac_f16_e64 v81, v2, v173
	v_mul_f16_e32 v2, v2, v3
	s_delay_alu instid0(VALU_DEP_3) | instskip(SKIP_1) | instid1(VALU_DEP_3)
	v_add_f16_e32 v0, v82, v52
	v_lshrrev_b32_e32 v3, 16, v179
	v_fma_f16 v51, v26, v173, -v2
	s_delay_alu instid0(VALU_DEP_3) | instskip(SKIP_1) | instid1(VALU_DEP_4)
	v_fma_f16 v97, -0.5, v0, v84
	v_lshrrev_b32_e32 v2, 16, v170
	v_mul_f16_e64 v126, v135, v3
	s_delay_alu instid0(VALU_DEP_4) | instskip(SKIP_1) | instid1(VALU_DEP_4)
	v_add_f16_e32 v0, v64, v51
	v_sub_f16_e32 v1, v52, v51
	v_mul_f16_e64 v115, v132, v2
	s_delay_alu instid0(VALU_DEP_3) | instskip(SKIP_1) | instid1(VALU_DEP_2)
	v_fmac_f16_e32 v84, -0.5, v0
	v_sub_f16_e32 v0, v82, v64
	v_fmamk_f16 v127, v113, 0xbb9c, v84
	s_delay_alu instid0(VALU_DEP_2) | instskip(SKIP_3) | instid1(VALU_DEP_3)
	v_add_f16_e32 v107, v0, v1
	v_lshrrev_b32_e32 v1, 16, v177
	v_lshrrev_b32_e32 v0, 16, v87
	v_fmac_f16_e32 v84, 0x3b9c, v113
	v_mul_f16_e32 v99, v87, v1
	s_delay_alu instid0(VALU_DEP_1) | instskip(SKIP_2) | instid1(VALU_DEP_2)
	v_fmac_f16_e64 v99, v0, v177
	v_mul_f16_e32 v0, v0, v1
	v_lshrrev_b32_e32 v1, 16, v132
	v_fma_f16 v108, v87, v177, -v0
	s_delay_alu instid0(VALU_DEP_2) | instskip(SKIP_2) | instid1(VALU_DEP_2)
	v_fmac_f16_e64 v115, v1, v170
	v_mul_f16_e32 v1, v1, v2
	v_lshrrev_b32_e32 v2, 16, v135
	v_fma_f16 v133, v132, v170, -v1
	s_delay_alu instid0(VALU_DEP_2) | instskip(SKIP_3) | instid1(VALU_DEP_4)
	v_fmac_f16_e64 v126, v2, v179
	v_mul_f16_e32 v2, v2, v3
	v_lshrrev_b32_e32 v3, 16, v172
	v_lshrrev_b32_e32 v1, 16, v193
	v_add_f16_e64 v229, v99, v126
	s_delay_alu instid0(VALU_DEP_4) | instskip(NEXT) | instid1(VALU_DEP_4)
	v_fma_f16 v191, v135, v179, -v2
	v_mul_f16_e64 v132, v193, v3
	v_sub_f16_e64 v135, v75, v81
	s_delay_alu instid0(VALU_DEP_3) | instskip(NEXT) | instid1(VALU_DEP_3)
	v_add_f16_e64 v215, v108, v191
	v_fmac_f16_e64 v132, v1, v172
	v_mul_f16_e32 v1, v1, v3
	v_lshrrev_b32_e32 v3, 16, v226
	v_fmac_f16_e64 v84, 0xb8b4, v135
	v_fmac_f16_e64 v127, 0x38b4, v135
	v_sub_f16_e64 v125, v115, v132
	v_fma_f16 v184, v193, v172, -v1
	v_fmac_f16_e64 v182, v3, v187
	v_mul_f16_e32 v3, v3, v4
	v_fmac_f16_e32 v84, 0x34f2, v107
	v_fmac_f16_e32 v127, 0x34f2, v107
	v_add_f16_e64 v0, v133, v184
	v_sub_f16_e64 v219, v126, v182
	v_fma_f16 v188, v226, v187, -v3
	v_lshrrev_b32_e32 v3, 16, v65
	v_sub_f16_e64 v157, v133, v184
	v_fma_f16 v109, -0.5, v0, v108
	s_delay_alu instid0(VALU_DEP_4) | instskip(SKIP_2) | instid1(VALU_DEP_3)
	v_add_f16_e64 v0, v191, v188
	v_sub_f16_e64 v1, v184, v188
	v_sub_f16_e64 v221, v191, v188
	v_fmac_f16_e32 v108, -0.5, v0
	v_sub_f16_e64 v0, v133, v191
	s_delay_alu instid0(VALU_DEP_2) | instskip(NEXT) | instid1(VALU_DEP_2)
	v_fma_f16 v145, 0xbb9c, v125, v108
	v_add_f16_e64 v203, v0, v1
	v_add_f16_e64 v0, v115, v132
	v_sub_f16_e64 v1, v132, v182
	v_fmac_f16_e32 v108, 0x3b9c, v125
	v_fmac_f16_e64 v145, 0x38b4, v219
	s_delay_alu instid0(VALU_DEP_4) | instskip(SKIP_1) | instid1(VALU_DEP_4)
	v_fma_f16 v216, -0.5, v0, v99
	v_add_f16_e64 v0, v126, v182
	v_fmac_f16_e64 v108, 0xb8b4, v219
	s_delay_alu instid0(VALU_DEP_4) | instskip(NEXT) | instid1(VALU_DEP_3)
	v_fmac_f16_e64 v145, 0x34f2, v203
	v_fmac_f16_e32 v99, -0.5, v0
	v_sub_f16_e32 v0, v115, v126
	s_delay_alu instid0(VALU_DEP_4) | instskip(NEXT) | instid1(VALU_DEP_3)
	v_fmac_f16_e64 v108, 0x34f2, v203
	v_fma_f16 v159, 0x3b9c, v157, v99
	s_delay_alu instid0(VALU_DEP_3) | instskip(SKIP_4) | instid1(VALU_DEP_3)
	v_add_f16_e64 v226, v0, v1
	v_lshrrev_b32_e32 v1, 16, v85
	v_fmac_f16_e64 v99, 0xbb9c, v157
	v_mul_f16_e32 v0, 0xb4f2, v108
	v_fmac_f16_e64 v159, 0xb8b4, v221
	v_fmac_f16_e64 v99, 0x38b4, v221
	s_delay_alu instid0(VALU_DEP_2) | instskip(NEXT) | instid1(VALU_DEP_2)
	v_fmac_f16_e64 v159, 0x34f2, v226
	v_fmac_f16_e64 v99, 0x34f2, v226
	s_delay_alu instid0(VALU_DEP_1) | instskip(NEXT) | instid1(VALU_DEP_1)
	v_fmac_f16_e32 v0, 0x3b9c, v99
	v_add_f16_e64 v230, v84, v0
	v_sub_f16_e64 v228, v84, v0
	v_lshrrev_b32_e32 v84, 16, v86
	s_wait_loadcnt 0x2
	v_lshrrev_b32_e32 v181, 16, v88
	v_lshrrev_b32_e32 v183, 16, v90
	s_wait_loadcnt 0x1
	v_lshrrev_b32_e32 v223, 16, v76
	v_lshrrev_b32_e32 v236, 16, v78
	;; [unrolled: 1-line block ×3, first 2 shown]
	v_mul_f16_e64 v2, v1, v181
	v_mul_f16_e64 v20, v65, v183
	;; [unrolled: 1-line block ×5, first 2 shown]
	v_fma_f16 v5, v85, v88, -v2
	v_mul_f16_e64 v2, v85, v181
	v_fmac_f16_e32 v20, v3, v90
	v_fma_f16 v35, v28, v76, -v7
	v_lshrrev_b32_e32 v28, 16, v30
	v_fma_f16 v37, v65, v90, -v4
	v_fmac_f16_e32 v2, v1, v88
	v_mul_lo_u16 v1, 0xdb, v70
	s_wait_loadcnt 0x0
	v_lshrrev_b32_e32 v0, 16, v106
	v_mul_f16_e64 v65, v28, v236
	v_lshrrev_b32_e32 v202, 16, v91
	v_fmac_f16_e32 v18, v6, v76
	v_lshrrev_b16 v57, 14, v1
	v_lshrrev_b32_e32 v1, 16, v27
	v_fma_f16 v65, v30, v78, -v65
	v_mul_f16_e64 v30, v30, v236
	v_mul_f16_e64 v231, v27, v0
	v_mul_lo_u16 v3, 0x4b, v57
	s_delay_alu instid0(VALU_DEP_4) | instskip(NEXT) | instid1(VALU_DEP_4)
	v_sub_f16_e32 v42, v35, v65
	v_fmac_f16_e32 v30, v28, v78
	v_mul_f16_e32 v28, v1, v0
	s_delay_alu instid0(VALU_DEP_4)
	v_sub_nc_u16 v3, v69, v3
	v_lshrrev_b32_e32 v0, 16, v192
	v_fmac_f16_e64 v231, v1, v106
	v_add_f16_e64 v155, v18, v30
	v_fma_f16 v70, v27, v106, -v28
	v_and_b32_e32 v56, 0xff, v3
	s_delay_alu instid0(VALU_DEP_4) | instskip(NEXT) | instid1(VALU_DEP_4)
	v_sub_f16_e64 v194, v231, v30
	v_fma_f16 v155, -0.5, v155, v2
	s_delay_alu instid0(VALU_DEP_4) | instskip(NEXT) | instid1(VALU_DEP_4)
	v_sub_f16_e64 v186, v70, v65
	v_mad_co_u64_u32 v[24:25], null, v56, 36, s[6:7]
	v_sub_f16_e32 v41, v37, v70
	global_load_b128 v[92:95], v[24:25], off offset:288
	s_wait_loadcnt 0x0
	v_lshrrev_b32_e32 v193, 16, v92
	v_lshrrev_b32_e32 v176, 16, v93
	;; [unrolled: 1-line block ×4, first 2 shown]
	s_delay_alu instid0(VALU_DEP_4) | instskip(SKIP_1) | instid1(VALU_DEP_4)
	v_mul_f16_e64 v27, v84, v193
	v_mul_f16_e64 v233, v86, v193
	;; [unrolled: 1-line block ×3, first 2 shown]
	s_delay_alu instid0(VALU_DEP_3) | instskip(SKIP_3) | instid1(VALU_DEP_2)
	v_fma_f16 v232, v86, v92, -v27
	ds_load_2addr_b32 v[27:28], v130 offset0:110 offset1:235
	v_lshrrev_b32_e32 v86, 16, v134
	v_fmac_f16_e64 v233, v84, v92
	v_fmac_f16_e32 v26, v86, v94
	s_delay_alu instid0(VALU_DEP_1) | instskip(SKIP_4) | instid1(VALU_DEP_2)
	v_add_f16_e64 v58, v233, v26
	s_wait_dscnt 0x0
	v_lshrrev_b32_e32 v85, 16, v27
	v_mul_f16_e64 v234, v27, v199
	v_mul_f16_e64 v241, v28, v176
	v_fmac_f16_e64 v234, v85, v89
	v_mul_f16_e64 v85, v85, v199
	s_delay_alu instid0(VALU_DEP_1) | instskip(SKIP_1) | instid1(VALU_DEP_1)
	v_fma_f16 v237, v27, v89, -v85
	v_lshrrev_b32_e32 v85, 16, v28
	v_mul_f16_e64 v27, v85, v176
	v_fmac_f16_e64 v241, v85, v93
	s_delay_alu instid0(VALU_DEP_2) | instskip(SKIP_1) | instid1(VALU_DEP_1)
	v_fma_f16 v240, v28, v93, -v27
	v_mul_f16_e64 v27, v86, v189
	v_fma_f16 v66, v134, v94, -v27
	ds_load_2addr_b32 v[27:28], v116 offset0:92 offset1:217
	v_add_f16_e32 v116, v2, v20
	v_add_f16_e64 v59, v232, v66
	s_delay_alu instid0(VALU_DEP_2) | instskip(NEXT) | instid1(VALU_DEP_1)
	v_add_f16_e32 v116, v116, v18
	v_add_f16_e32 v116, v116, v30
	s_delay_alu instid0(VALU_DEP_1) | instskip(SKIP_4) | instid1(VALU_DEP_2)
	v_add_f16_e64 v116, v116, v231
	s_wait_dscnt 0x0
	v_lshrrev_b32_e32 v87, 16, v27
	v_mul_f16_e64 v10, v27, v202
	v_mul_f16_e64 v31, v28, v175
	v_fmac_f16_e32 v10, v87, v91
	v_mul_f16_e64 v87, v87, v202
	s_delay_alu instid0(VALU_DEP_1) | instskip(SKIP_1) | instid1(VALU_DEP_1)
	v_fma_f16 v27, v27, v91, -v87
	v_lshrrev_b32_e32 v87, 16, v28
	v_mul_f16_e64 v134, v87, v175
	v_fmac_f16_e32 v31, v87, v95
	s_clause 0x1
	global_load_b32 v209, v[24:25], off offset:320
	global_load_b128 v[84:87], v[24:25], off offset:304
	v_fma_f16 v40, v28, v95, -v134
	v_lshrrev_b32_e32 v134, 16, v77
	s_wait_loadcnt 0x1
	v_lshrrev_b32_e32 v1, 16, v209
	s_wait_loadcnt 0x0
	v_lshrrev_b32_e32 v222, 16, v84
	v_lshrrev_b32_e32 v211, 16, v85
	;; [unrolled: 1-line block ×3, first 2 shown]
	s_delay_alu instid0(VALU_DEP_3) | instskip(SKIP_1) | instid1(VALU_DEP_3)
	v_mul_f16_e64 v24, v14, v222
	v_mul_f16_e64 v21, v131, v222
	;; [unrolled: 1-line block ×3, first 2 shown]
	s_delay_alu instid0(VALU_DEP_3) | instskip(SKIP_3) | instid1(VALU_DEP_1)
	v_fma_f16 v39, v131, v84, -v24
	ds_load_2addr_b32 v[24:25], v185 offset0:74 offset1:199
	v_fmac_f16_e32 v16, v0, v86
	v_fmac_f16_e32 v21, v14, v84
	v_sub_f16_e32 v49, v21, v16
	s_wait_dscnt 0x0
	v_lshrrev_b32_e32 v131, 16, v24
	v_mul_f16_e64 v8, v24, v134
	v_lshrrev_b32_e32 v7, 16, v25
	v_mul_f16_e64 v28, v25, v211
	s_delay_alu instid0(VALU_DEP_3) | instskip(SKIP_1) | instid1(VALU_DEP_4)
	v_fmac_f16_e64 v8, v131, v77
	v_mul_f16_e64 v131, v131, v134
	v_mul_f16_e64 v19, v7, v211
	s_delay_alu instid0(VALU_DEP_4) | instskip(NEXT) | instid1(VALU_DEP_4)
	v_fmac_f16_e32 v28, v7, v85
	v_add_f16_e64 v244, v10, v8
	s_delay_alu instid0(VALU_DEP_4)
	v_fma_f16 v12, v24, v77, -v131
	v_mul_f16_e64 v24, v0, v212
	v_fma_f16 v33, v25, v85, -v19
	v_lshrrev_b32_e32 v131, 16, v79
	v_sub_f16_e32 v50, v31, v28
	v_add_f16_e64 v141, v27, v12
	v_fma_f16 v34, v192, v86, -v24
	ds_load_2addr_b32 v[24:25], v68 offset0:56 offset1:181
	v_add_f16_e32 v0, v40, v33
	v_sub_f16_e32 v19, v10, v8
	v_sub_f16_e32 v17, v27, v12
	;; [unrolled: 1-line block ×3, first 2 shown]
	s_wait_dscnt 0x0
	v_lshrrev_b32_e32 v192, 16, v24
	v_mul_f16_e64 v4, v24, v131
	s_delay_alu instid0(VALU_DEP_1) | instskip(SKIP_1) | instid1(VALU_DEP_2)
	v_fmac_f16_e64 v4, v192, v79
	v_mul_f16_e64 v192, v192, v131
	v_sub_f16_e64 v213, v4, v8
	s_delay_alu instid0(VALU_DEP_2) | instskip(SKIP_2) | instid1(VALU_DEP_3)
	v_fma_f16 v11, v24, v79, -v192
	v_lshrrev_b32_e32 v24, 16, v25
	v_lshrrev_b32_e32 v192, 16, v87
	v_sub_f16_e64 v217, v11, v12
	v_add_f16_e64 v128, v237, v11
	s_delay_alu instid0(VALU_DEP_3) | instskip(SKIP_2) | instid1(VALU_DEP_3)
	v_mul_f16_e64 v242, v24, v192
	v_mul_f16_e64 v22, v25, v192
	v_sub_f16_e64 v15, v237, v11
	v_fma_f16 v242, v25, v87, -v242
	v_lshrrev_b32_e32 v25, 16, v225
	s_delay_alu instid0(VALU_DEP_4) | instskip(NEXT) | instid1(VALU_DEP_3)
	v_fmac_f16_e32 v22, v24, v87
	v_add_f16_e64 v7, v240, v242
	s_delay_alu instid0(VALU_DEP_3) | instskip(SKIP_1) | instid1(VALU_DEP_4)
	v_mul_f16_e64 v218, v25, v1
	v_sub_f16_e64 v200, v33, v242
	v_sub_f16_e64 v46, v241, v22
	s_delay_alu instid0(VALU_DEP_3) | instskip(SKIP_3) | instid1(VALU_DEP_4)
	v_fma_f16 v218, v225, v209, -v218
	v_mul_f16_e64 v225, v225, v1
	v_fma_f16 v1, 0xbb9c, v41, v155
	v_fmac_f16_e64 v155, 0x3b9c, v41
	v_sub_f16_e64 v158, v34, v218
	s_delay_alu instid0(VALU_DEP_4)
	v_fmac_f16_e64 v225, v25, v209
	ds_load_2addr_b32 v[24:25], v165 offset1:125
	v_sub_f16_e64 v45, v66, v218
	v_fmac_f16_e32 v1, 0xb8b4, v42
	global_wb scope:SCOPE_SE
	s_wait_dscnt 0x0
	v_sub_f16_e64 v47, v26, v225
	v_sub_f16_e64 v38, v16, v225
	s_barrier_signal -1
	s_barrier_wait -1
	global_inv scope:SCOPE_SE
	v_fmac_f16_e64 v155, 0x38b4, v42
	v_fma_f16 v13, -0.5, v0, v25
	v_lshrrev_b32_e32 v14, 16, v25
	v_add_f16_e64 v60, v25, v240
	v_fmac_f16_e32 v25, -0.5, v7
	v_sub_f16_e64 v7, v40, v240
	v_add_f16_e64 v0, v66, v218
	v_fma_f16 v141, -0.5, v141, v24
	v_fma_f16 v128, -0.5, v128, v24
	v_fmamk_f16 v32, v50, 0xbb9c, v25
	v_add_f16_e64 v54, v7, v200
	v_add_f16_e64 v200, v39, v34
	v_fmac_f16_e32 v25, 0x3b9c, v50
	v_add_f16_e64 v36, v24, v237
	v_fmac_f16_e32 v32, 0x38b4, v46
	s_delay_alu instid0(VALU_DEP_4) | instskip(SKIP_4) | instid1(VALU_DEP_4)
	v_fma_f16 v200, -0.5, v200, v232
	v_fmac_f16_e64 v232, -0.5, v0
	v_sub_f16_e32 v0, v39, v66
	v_fmac_f16_e32 v25, 0xb8b4, v46
	v_fmac_f16_e32 v32, 0x34f2, v54
	v_fma_f16 v29, 0xbb9c, v49, v232
	s_delay_alu instid0(VALU_DEP_4)
	v_add_f16_e64 v55, v0, v158
	v_add_f16_e64 v158, v21, v16
	;; [unrolled: 1-line block ×3, first 2 shown]
	v_fmac_f16_e64 v232, 0x3b9c, v49
	v_fmac_f16_e32 v25, 0x34f2, v54
	v_fmac_f16_e32 v29, 0x38b4, v47
	v_fma_f16 v158, -0.5, v158, v233
	v_fmac_f16_e64 v233, -0.5, v0
	v_sub_f16_e32 v0, v21, v26
	v_fmac_f16_e64 v232, 0xb8b4, v47
	v_fmac_f16_e32 v29, 0x34f2, v55
	s_delay_alu instid0(VALU_DEP_4)
	v_fma_f16 v23, 0x3b9c, v48, v233
	v_fmac_f16_e64 v233, 0xbb9c, v48
	v_add_f16_e32 v53, v0, v38
	v_fmac_f16_e64 v232, 0x34f2, v55
	v_sub_f16_e32 v38, v18, v30
	v_fmac_f16_e32 v23, 0xb8b4, v45
	v_fmac_f16_e64 v233, 0x38b4, v45
	s_delay_alu instid0(VALU_DEP_4) | instskip(NEXT) | instid1(VALU_DEP_3)
	v_mul_f16_e64 v0, 0xb4f2, v232
	v_fmac_f16_e32 v23, 0x34f2, v53
	s_delay_alu instid0(VALU_DEP_3) | instskip(NEXT) | instid1(VALU_DEP_1)
	v_fmac_f16_e64 v233, 0x34f2, v53
	v_fmac_f16_e64 v0, 0x3b9c, v233
	s_delay_alu instid0(VALU_DEP_1) | instskip(SKIP_4) | instid1(VALU_DEP_3)
	v_add_f16_e32 v67, v25, v0
	v_sub_f16_e32 v63, v25, v0
	v_sub_f16_e64 v0, v237, v27
	v_lshrrev_b32_e32 v25, 16, v24
	v_sub_f16_e64 v24, v20, v231
	v_add_f16_e64 v44, v0, v217
	v_sub_f16_e64 v217, v234, v10
	s_delay_alu instid0(VALU_DEP_4) | instskip(NEXT) | instid1(VALU_DEP_2)
	v_fma_f16 v244, -0.5, v244, v25
	v_add_f16_e64 v213, v217, v213
	v_sub_f16_e64 v217, v37, v35
	s_delay_alu instid0(VALU_DEP_1) | instskip(SKIP_1) | instid1(VALU_DEP_1)
	v_add_f16_e64 v186, v217, v186
	v_sub_f16_e64 v217, v20, v18
	v_add_f16_e64 v194, v217, v194
	v_add_f16_e64 v217, v35, v65
	s_delay_alu instid0(VALU_DEP_2) | instskip(NEXT) | instid1(VALU_DEP_2)
	v_fmac_f16_e64 v1, 0x34f2, v194
	v_fma_f16 v217, -0.5, v217, v5
	v_fmac_f16_e64 v155, 0x34f2, v194
	s_delay_alu instid0(VALU_DEP_3) | instskip(NEXT) | instid1(VALU_DEP_3)
	v_mul_f16_e32 v9, 0x38b4, v1
	v_fma_f16 v0, 0x3b9c, v24, v217
	v_fmac_f16_e64 v217, 0xbb9c, v24
	s_delay_alu instid0(VALU_DEP_2) | instskip(NEXT) | instid1(VALU_DEP_2)
	v_fmac_f16_e32 v0, 0x38b4, v38
	v_fmac_f16_e64 v217, 0xb8b4, v38
	s_delay_alu instid0(VALU_DEP_2) | instskip(NEXT) | instid1(VALU_DEP_2)
	v_fmac_f16_e64 v0, 0x34f2, v186
	v_fmac_f16_e64 v217, 0x34f2, v186
	s_delay_alu instid0(VALU_DEP_2) | instskip(SKIP_1) | instid1(VALU_DEP_2)
	v_mul_f16_e32 v7, 0xb8b4, v0
	v_fmac_f16_e32 v9, 0x3a79, v0
	v_fmac_f16_e32 v7, 0x3a79, v1
	s_wait_alu 0xfffd
	v_cndmask_b32_e64 v1, 0, 0x2ee, vcc_lo
	s_delay_alu instid0(VALU_DEP_1) | instskip(SKIP_3) | instid1(VALU_DEP_3)
	v_add_lshl_u32 v251, v83, v1, 2
	v_add_f16_e32 v1, v36, v27
	v_add_f16_e64 v36, v25, v234
	v_add_f16_e32 v83, v5, v37
	v_add_f16_e32 v1, v1, v12
	s_delay_alu instid0(VALU_DEP_3) | instskip(NEXT) | instid1(VALU_DEP_3)
	v_add_f16_e32 v36, v36, v10
	v_add_f16_e32 v83, v83, v35
	s_delay_alu instid0(VALU_DEP_3) | instskip(NEXT) | instid1(VALU_DEP_3)
	v_add_f16_e32 v43, v1, v11
	v_add_f16_e32 v36, v36, v8
	s_delay_alu instid0(VALU_DEP_3) | instskip(NEXT) | instid1(VALU_DEP_2)
	v_add_f16_e32 v83, v83, v65
	v_add_f16_e32 v36, v36, v4
	s_delay_alu instid0(VALU_DEP_2) | instskip(NEXT) | instid1(VALU_DEP_2)
	v_add_f16_e32 v83, v83, v70
	v_add_f16_e64 v140, v36, v116
	s_delay_alu instid0(VALU_DEP_2) | instskip(NEXT) | instid1(VALU_DEP_1)
	v_add_f16_e32 v0, v43, v83
	v_pack_b32_f16 v3, v0, v140
	v_sub_f16_e64 v140, v234, v4
	v_fma_f16 v0, 0xbb9c, v15, v244
	v_fmac_f16_e64 v244, 0x3b9c, v15
	s_delay_alu instid0(VALU_DEP_3) | instskip(NEXT) | instid1(VALU_DEP_3)
	v_fma_f16 v1, 0x3b9c, v140, v141
	v_fmac_f16_e32 v0, 0xb8b4, v17
	s_delay_alu instid0(VALU_DEP_3) | instskip(SKIP_1) | instid1(VALU_DEP_4)
	v_fmac_f16_e64 v244, 0x38b4, v17
	v_fmac_f16_e64 v141, 0xbb9c, v140
	v_fmac_f16_e32 v1, 0x38b4, v19
	s_delay_alu instid0(VALU_DEP_4) | instskip(NEXT) | instid1(VALU_DEP_4)
	v_fmac_f16_e64 v0, 0x34f2, v213
	v_fmac_f16_e64 v244, 0x34f2, v213
	s_delay_alu instid0(VALU_DEP_4) | instskip(NEXT) | instid1(VALU_DEP_4)
	v_fmac_f16_e64 v141, 0xb8b4, v19
	v_fmac_f16_e32 v1, 0x34f2, v44
	s_delay_alu instid0(VALU_DEP_4)
	v_add_f16_e32 v61, v0, v7
	v_sub_f16_e32 v0, v0, v7
	v_sub_f16_e64 v7, v218, v34
	v_fmac_f16_e64 v141, 0x34f2, v44
	v_add_f16_e32 v6, v1, v9
	v_sub_f16_e32 v1, v1, v9
	v_sub_f16_e64 v9, v225, v16
	s_delay_alu instid0(VALU_DEP_3) | instskip(NEXT) | instid1(VALU_DEP_3)
	v_pack_b32_f16 v6, v6, v61
	v_pack_b32_f16 v0, v1, v0
	ds_store_2addr_b32 v251, v3, v6 offset1:75
	v_sub_f16_e64 v3, v27, v237
	v_sub_f16_e32 v6, v12, v11
	s_delay_alu instid0(VALU_DEP_1)
	v_add_f16_e32 v3, v3, v6
	v_sub_f16_e64 v6, v10, v234
	v_add_f16_e64 v10, v234, v4
	v_sub_f16_e32 v4, v8, v4
	v_fma_f16 v8, 0xbb9c, v19, v128
	v_fmac_f16_e64 v128, 0x3b9c, v19
	s_delay_alu instid0(VALU_DEP_4) | instskip(SKIP_1) | instid1(VALU_DEP_4)
	v_fmac_f16_e32 v25, -0.5, v10
	v_sub_f16_e32 v10, v65, v70
	v_fmac_f16_e64 v8, 0x38b4, v140
	s_delay_alu instid0(VALU_DEP_4) | instskip(NEXT) | instid1(VALU_DEP_4)
	v_fmac_f16_e64 v128, 0xb8b4, v140
	v_fmamk_f16 v11, v17, 0x3b9c, v25
	v_fmac_f16_e32 v25, 0xbb9c, v17
	s_delay_alu instid0(VALU_DEP_4) | instskip(NEXT) | instid1(VALU_DEP_4)
	v_fmac_f16_e32 v8, 0x34f2, v3
	v_fmac_f16_e64 v128, 0x34f2, v3
	v_add_f16_e32 v3, v6, v4
	v_add_f16_e32 v6, v37, v70
	v_sub_f16_e32 v4, v35, v37
	v_fmac_f16_e32 v11, 0xb8b4, v15
	v_fmac_f16_e32 v25, 0x38b4, v15
	v_sub_f16_e32 v15, v36, v116
	v_fmac_f16_e32 v5, -0.5, v6
	v_sub_f16_e64 v6, v30, v231
	v_fmac_f16_e32 v11, 0x34f2, v3
	v_fmac_f16_e32 v25, 0x34f2, v3
	v_add_f16_e32 v3, v4, v10
	v_add_f16_e64 v4, v20, v231
	v_fmamk_f16 v10, v38, 0xbb9c, v5
	v_fmac_f16_e32 v5, 0x3b9c, v38
	s_delay_alu instid0(VALU_DEP_3) | instskip(SKIP_1) | instid1(VALU_DEP_4)
	v_fmac_f16_e32 v2, -0.5, v4
	v_sub_f16_e32 v4, v18, v20
	v_fmac_f16_e32 v10, 0x38b4, v24
	s_delay_alu instid0(VALU_DEP_4) | instskip(SKIP_1) | instid1(VALU_DEP_3)
	v_fmac_f16_e32 v5, 0xb8b4, v24
	v_mul_f16_e64 v20, 0xb4f2, v233
	v_fmac_f16_e32 v10, 0x34f2, v3
	s_delay_alu instid0(VALU_DEP_3)
	v_fmac_f16_e32 v5, 0x34f2, v3
	v_add_f16_e32 v3, v4, v6
	v_fmamk_f16 v4, v42, 0x3b9c, v2
	v_fmac_f16_e32 v2, 0xbb9c, v42
	v_mul_f16_e32 v6, 0xbb9c, v10
	v_fmac_f16_e64 v20, 0xbb9c, v232
	s_delay_alu instid0(VALU_DEP_4) | instskip(NEXT) | instid1(VALU_DEP_4)
	v_fmac_f16_e32 v4, 0xb8b4, v41
	v_fmac_f16_e32 v2, 0x38b4, v41
	s_delay_alu instid0(VALU_DEP_2) | instskip(NEXT) | instid1(VALU_DEP_2)
	v_fmac_f16_e32 v4, 0x34f2, v3
	v_fmac_f16_e32 v2, 0x34f2, v3
	s_delay_alu instid0(VALU_DEP_2) | instskip(SKIP_2) | instid1(VALU_DEP_3)
	v_mul_f16_e32 v3, 0x3b9c, v4
	v_fmac_f16_e32 v6, 0x34f2, v4
	v_mul_f16_e32 v4, 0xb4f2, v5
	v_fmac_f16_e32 v3, 0x34f2, v10
	s_delay_alu instid0(VALU_DEP_3) | instskip(NEXT) | instid1(VALU_DEP_3)
	v_add_f16_e32 v10, v11, v6
	v_fmac_f16_e32 v4, 0x3b9c, v2
	v_mul_f16_e32 v2, 0xb4f2, v2
	v_sub_f16_e32 v6, v11, v6
	s_delay_alu instid0(VALU_DEP_2) | instskip(SKIP_3) | instid1(VALU_DEP_4)
	v_fmac_f16_e32 v2, 0xbb9c, v5
	v_add_f16_e32 v5, v8, v3
	v_sub_f16_e32 v3, v8, v3
	v_sub_f16_e32 v8, v26, v21
	v_add_f16_e32 v12, v25, v2
	s_delay_alu instid0(VALU_DEP_4)
	v_pack_b32_f16 v5, v5, v10
	v_add_f16_e64 v10, v128, v4
	v_pack_b32_f16 v1, v3, v6
	v_add_nc_u32_e32 v3, 0x600, v251
	v_sub_f16_e32 v2, v25, v2
	v_add_f16_e32 v8, v8, v9
	v_pack_b32_f16 v10, v10, v12
	v_sub_f16_e32 v12, v43, v83
	ds_store_2addr_b32 v3, v0, v1 offset0:66 offset1:141
	v_sub_f16_e64 v0, v128, v4
	v_fma_f16 v9, 0xbb9c, v45, v158
	ds_store_2addr_b32 v251, v5, v10 offset0:150 offset1:225
	v_mul_f16_e64 v10, 0xba79, v155
	v_pack_b32_f16 v12, v12, v15
	v_add_nc_u32_e32 v15, 0x400, v251
	v_pack_b32_f16 v0, v0, v2
	v_add_nc_u32_e32 v2, 0x800, v251
	v_fmac_f16_e64 v10, 0xb8b4, v217
	s_clause 0x1
	scratch_store_b32 off, v3, off offset:316
	scratch_store_b32 off, v15, off offset:312
	v_sub_f16_e32 v6, v66, v39
	v_fmac_f16_e32 v9, 0xb8b4, v48
	v_add_f16_e64 v18, v244, v10
	v_sub_f16_e64 v3, v244, v10
	v_fma_f16 v10, 0x3b9c, v47, v200
	v_add_f16_e32 v6, v6, v7
	v_fmac_f16_e32 v9, 0x34f2, v8
	v_mul_f16_e64 v5, 0xba79, v217
	v_add_f16_e32 v7, v58, v21
	v_fmac_f16_e32 v10, 0x38b4, v49
	v_sub_f16_e64 v4, v241, v31
	v_mul_f16_e32 v11, 0x38b4, v9
	v_fmac_f16_e64 v5, 0x38b4, v155
	v_add_f16_e32 v7, v7, v16
	v_fmac_f16_e32 v10, 0x34f2, v6
	scratch_store_b32 off, v2, off offset:320 ; 4-byte Folded Spill
	v_fmamk_f16 v16, v46, 0x3b9c, v13
	v_sub_f16_e64 v1, v141, v5
	v_add_f16_e64 v17, v141, v5
	v_fmac_f16_e32 v11, 0x3a79, v10
	v_mul_f16_e32 v10, 0xb8b4, v10
	v_sub_f16_e32 v5, v22, v28
	v_pack_b32_f16 v1, v1, v3
	v_add_f16_e64 v7, v7, v225
	v_pack_b32_f16 v17, v17, v18
	v_fmac_f16_e32 v10, 0x3a79, v9
	v_and_b32_e32 v9, 0xffff, v57
	ds_store_2addr_b32 v2, v0, v1 offset0:88 offset1:163
	v_sub_f16_e64 v0, v240, v40
	v_sub_f16_e64 v1, v242, v33
	v_add_f16_e32 v4, v4, v5
	v_mul_u32_u24_e32 v9, 0x2ee, v9
	v_add_f16_e32 v5, v59, v39
	ds_store_2addr_b32 v15, v17, v12 offset0:44 offset1:119
	v_add_f16_e32 v0, v0, v1
	v_add_f16_e32 v1, v60, v40
	v_add_lshl_u32 v225, v9, v56, 2
	v_add_f16_e64 v9, v14, v241
	v_add_f16_e32 v5, v5, v34
	v_sub_f16_e64 v2, v240, v242
	v_add_f16_e32 v1, v1, v33
	v_sub_f16_e32 v3, v40, v33
	v_add_f16_e32 v9, v9, v31
	v_add_f16_e64 v5, v5, v218
	v_fmac_f16_e32 v16, 0x38b4, v50
	v_add_f16_e64 v1, v1, v242
	v_fmac_f16_e64 v200, 0xbb9c, v47
	v_add_f16_e32 v9, v9, v28
	v_fmac_f16_e64 v158, 0x3b9c, v45
	v_fmac_f16_e32 v16, 0x34f2, v0
	v_add_f16_e32 v12, v1, v5
	v_fmac_f16_e32 v13, 0xbb9c, v46
	v_add_f16_e32 v9, v9, v22
	v_fmac_f16_e64 v200, 0xb8b4, v49
	v_add_f16_e32 v18, v16, v11
	v_fmac_f16_e64 v158, 0x38b4, v48
	v_fmac_f16_e32 v13, 0xb8b4, v50
	v_add_f16_e32 v15, v9, v7
	v_fmac_f16_e64 v200, 0x34f2, v6
	v_sub_f16_e32 v1, v1, v5
	v_fmac_f16_e64 v158, 0x34f2, v8
	v_fmac_f16_e32 v13, 0x34f2, v0
	v_pack_b32_f16 v12, v12, v15
	v_add_f16_e32 v15, v31, v28
	v_mul_f16_e64 v0, 0xba79, v200
	v_sub_f16_e64 v6, v191, v133
	v_sub_f16_e32 v8, v126, v115
	v_mov_b32_e32 v45, v68
	v_fma_f16 v15, -0.5, v15, v14
	v_fmac_f16_e64 v0, 0x38b4, v158
	v_mov_b32_e32 v244, v100
	s_delay_alu instid0(VALU_DEP_3) | instskip(SKIP_1) | instid1(VALU_DEP_2)
	v_fmamk_f16 v17, v2, 0xbb9c, v15
	v_fmac_f16_e32 v15, 0x3b9c, v2
	v_fmac_f16_e32 v17, 0xb8b4, v3
	s_delay_alu instid0(VALU_DEP_2) | instskip(NEXT) | instid1(VALU_DEP_2)
	v_fmac_f16_e32 v15, 0x38b4, v3
	v_fmac_f16_e32 v17, 0x34f2, v4
	s_delay_alu instid0(VALU_DEP_2) | instskip(SKIP_2) | instid1(VALU_DEP_4)
	v_fmac_f16_e32 v15, 0x34f2, v4
	v_add_f16_e32 v4, v13, v0
	v_sub_f16_e32 v0, v13, v0
	v_add_f16_e32 v19, v17, v10
	s_delay_alu instid0(VALU_DEP_1)
	v_pack_b32_f16 v18, v18, v19
	v_mul_f16_e32 v19, 0xbb9c, v29
	ds_store_2addr_b32 v225, v12, v18 offset1:75
	v_add_f16_e64 v12, v241, v22
	v_sub_f16_e32 v18, v28, v22
	v_fmac_f16_e32 v19, 0x34f2, v23
	s_delay_alu instid0(VALU_DEP_3) | instskip(SKIP_1) | instid1(VALU_DEP_1)
	v_fmac_f16_e32 v14, -0.5, v12
	v_sub_f16_e64 v12, v31, v241
	v_add_f16_e32 v12, v12, v18
	s_delay_alu instid0(VALU_DEP_3)
	v_fmamk_f16 v18, v3, 0x3b9c, v14
	v_fmac_f16_e32 v14, 0xbb9c, v3
	v_sub_f16_e32 v3, v9, v7
	v_sub_f16_e64 v7, v188, v184
	v_sub_f16_e64 v9, v182, v132
	v_fmac_f16_e32 v18, 0xb8b4, v2
	v_fmac_f16_e32 v14, 0x38b4, v2
	v_mul_f16_e64 v2, 0xba79, v158
	v_pack_b32_f16 v1, v1, v3
	v_add_nc_u32_e32 v3, 0x400, v225
	v_fmac_f16_e32 v18, 0x34f2, v12
	v_fmac_f16_e32 v14, 0x34f2, v12
	v_fmac_f16_e64 v2, 0xb8b4, v200
	v_mul_f16_e32 v12, 0x3b9c, v23
	v_add_f16_e32 v6, v6, v7
	v_add_f16_e64 v7, v229, v115
	v_add_f16_e32 v22, v18, v19
	v_add_f16_e32 v5, v15, v2
	v_fmac_f16_e32 v12, 0x34f2, v29
	v_sub_f16_e32 v2, v15, v2
	v_add_f16_e64 v7, v7, v132
	v_add_f16_e32 v8, v8, v9
	v_pack_b32_f16 v4, v4, v5
	v_sub_f16_e32 v5, v18, v19
	v_pack_b32_f16 v0, v0, v2
	v_add_nc_u32_e32 v2, 0x800, v225
	v_add_f16_e32 v21, v32, v12
	ds_store_2addr_b32 v3, v4, v1 offset0:44 offset1:119
	v_sub_f16_e32 v1, v16, v11
	v_sub_f16_e32 v4, v17, v10
	v_add_f16_e64 v7, v7, v182
	v_pack_b32_f16 v21, v21, v22
	v_add_f16_e32 v22, v14, v20
	v_fma_f16 v9, 0xbb9c, v221, v216
	v_pack_b32_f16 v1, v1, v4
	v_add_nc_u32_e32 v4, 0x600, v225
	scratch_store_b32 off, v3, off offset:300 ; 4-byte Folded Spill
	v_sub_f16_e32 v3, v32, v12
	v_add_f16_e32 v12, v98, v75
	v_fmac_f16_e64 v9, 0xb8b4, v157
	s_clause 0x1
	scratch_store_b32 off, v4, off offset:304
	scratch_store_b32 off, v2, off offset:308
	v_pack_b32_f16 v3, v3, v5
	v_sub_f16_e32 v5, v81, v80
	v_add_f16_e32 v12, v12, v74
	v_fma_f16 v10, 0x3b9c, v219, v109
	v_fmac_f16_e32 v9, 0x34f2, v8
	ds_store_2addr_b32 v4, v1, v3 offset0:66 offset1:141
	v_sub_f16_e32 v1, v14, v20
	v_sub_f16_e32 v4, v75, v74
	v_add_f16_e32 v12, v12, v80
	v_fmac_f16_e32 v10, 0x38b4, v125
	v_sub_f16_e32 v3, v82, v52
	v_pack_b32_f16 v1, v63, v1
	v_add_f16_e32 v4, v4, v5
	v_add_f16_e64 v5, v215, v133
	v_add_f16_e32 v12, v12, v81
	v_fmac_f16_e32 v10, 0x34f2, v6
	ds_store_2addr_b32 v2, v1, v0 offset0:88 offset1:163
	v_sub_f16_e32 v0, v64, v82
	v_sub_f16_e32 v1, v51, v52
	v_add_f16_e64 v5, v5, v184
	v_add_f16_e32 v14, v12, v7
	v_sub_f16_e32 v2, v64, v51
	v_mul_f16_e32 v11, 0x38b4, v9
	v_add_f16_e32 v0, v0, v1
	v_add_f16_e32 v1, v110, v82
	v_add_f16_e64 v5, v5, v188
	v_fma_f16 v15, 0x3b9c, v135, v97
	v_fmac_f16_e32 v11, 0x3a79, v10
	v_mul_f16_e32 v10, 0xb8b4, v10
	v_add_f16_e32 v1, v1, v52
	v_pack_b32_f16 v22, v67, v22
	v_fmac_f16_e32 v15, 0x38b4, v113
	v_fmac_f16_e64 v109, 0xbb9c, v219
	v_fmac_f16_e32 v10, 0x3a79, v9
	v_add_f16_e32 v1, v1, v51
	v_mad_u16 v9, 0x2ee, v73, v71
	v_fmac_f16_e32 v15, 0x34f2, v0
	v_fmac_f16_e64 v216, 0x3b9c, v221
	ds_store_2addr_b32 v225, v21, v22 offset0:150 offset1:225
	v_add_f16_e32 v13, v1, v5
	v_and_b32_e32 v9, 0xffff, v9
	v_add_f16_e32 v17, v15, v11
	v_fmac_f16_e64 v97, 0xbb9c, v135
	v_fmac_f16_e32 v109, 0xb8b4, v125
	v_pack_b32_f16 v13, v13, v14
	v_add_f16_e32 v14, v74, v80
	v_lshlrev_b32_e32 v215, 2, v9
	v_add_f16_e32 v9, v75, v81
	v_fmac_f16_e64 v216, 0x38b4, v157
	v_fmac_f16_e32 v97, 0xb8b4, v113
	v_fma_f16 v14, -0.5, v14, v98
	v_fmac_f16_e32 v109, 0x34f2, v6
	v_fmac_f16_e32 v98, -0.5, v9
	v_sub_f16_e32 v9, v74, v75
	v_fmac_f16_e64 v216, 0x34f2, v8
	v_fmamk_f16 v16, v2, 0xbb9c, v14
	v_fmac_f16_e32 v14, 0x3b9c, v2
	v_fmac_f16_e32 v97, 0x34f2, v0
	v_mul_f16_e32 v0, 0xba79, v109
	v_sub_f16_e32 v1, v1, v5
	v_fmac_f16_e32 v16, 0xb8b4, v3
	v_fmac_f16_e32 v14, 0x38b4, v3
	v_mov_b32_e32 v113, v62
	v_fmac_f16_e64 v0, 0x38b4, v216
	s_delay_alu instid0(VALU_DEP_4) | instskip(NEXT) | instid1(VALU_DEP_4)
	v_fmac_f16_e32 v16, 0x34f2, v4
	v_fmac_f16_e32 v14, 0x34f2, v4
	s_delay_alu instid0(VALU_DEP_3) | instskip(SKIP_1) | instid1(VALU_DEP_4)
	v_add_f16_e32 v4, v97, v0
	v_sub_f16_e32 v0, v97, v0
	v_add_f16_e32 v18, v16, v10
	s_delay_alu instid0(VALU_DEP_1)
	v_pack_b32_f16 v17, v17, v18
	v_mul_f16_e32 v18, 0xb4f2, v99
	ds_store_2addr_b32 v215, v13, v17 offset1:75
	v_sub_f16_e32 v13, v80, v81
	v_mul_f16_e64 v17, 0xbb9c, v145
	v_fmac_f16_e32 v18, 0xbb9c, v108
	s_delay_alu instid0(VALU_DEP_3) | instskip(SKIP_4) | instid1(VALU_DEP_4)
	v_add_f16_e32 v9, v9, v13
	v_fmamk_f16 v13, v3, 0x3b9c, v98
	v_fmac_f16_e32 v98, 0xbb9c, v3
	v_sub_f16_e32 v3, v12, v7
	v_fmac_f16_e64 v17, 0x34f2, v159
	v_fmac_f16_e32 v13, 0xb8b4, v2
	s_delay_alu instid0(VALU_DEP_4)
	v_fmac_f16_e32 v98, 0x38b4, v2
	v_mul_f16_e64 v2, 0xba79, v216
	v_pack_b32_f16 v1, v1, v3
	v_add_nc_u32_e32 v3, 0x400, v215
	v_fmac_f16_e32 v13, 0x34f2, v9
	v_fmac_f16_e32 v98, 0x34f2, v9
	;; [unrolled: 1-line block ×3, first 2 shown]
	v_mul_f16_e64 v9, 0x3b9c, v159
	s_delay_alu instid0(VALU_DEP_4) | instskip(NEXT) | instid1(VALU_DEP_3)
	v_add_f16_e32 v20, v13, v17
	v_add_f16_e32 v5, v14, v2
	s_delay_alu instid0(VALU_DEP_3) | instskip(SKIP_1) | instid1(VALU_DEP_3)
	v_fmac_f16_e64 v9, 0x34f2, v145
	v_sub_f16_e32 v2, v14, v2
	v_pack_b32_f16 v4, v4, v5
	v_sub_f16_e32 v5, v13, v17
	s_delay_alu instid0(VALU_DEP_4) | instskip(NEXT) | instid1(VALU_DEP_4)
	v_add_f16_e32 v19, v127, v9
	v_pack_b32_f16 v0, v0, v2
	v_add_nc_u32_e32 v2, 0x800, v215
	ds_store_2addr_b32 v3, v4, v1 offset0:44 offset1:119
	v_sub_f16_e32 v1, v15, v11
	v_sub_f16_e32 v4, v16, v10
	v_pack_b32_f16 v19, v19, v20
	v_add_f16_e32 v20, v98, v18
	scratch_store_b32 off, v2, off offset:296 ; 4-byte Folded Spill
	v_pack_b32_f16 v1, v1, v4
	v_add_nc_u32_e32 v4, 0x600, v215
	scratch_store_b32 off, v3, off offset:288 ; 4-byte Folded Spill
	v_sub_f16_e32 v3, v127, v9
	v_pack_b32_f16 v20, v230, v20
	scratch_store_b32 off, v4, off offset:292 ; 4-byte Folded Spill
	v_pack_b32_f16 v3, v3, v5
	ds_store_2addr_b32 v215, v19, v20 offset0:150 offset1:225
	ds_store_2addr_b32 v4, v1, v3 offset0:66 offset1:141
	v_sub_f16_e32 v1, v98, v18
	s_delay_alu instid0(VALU_DEP_1)
	v_pack_b32_f16 v1, v228, v1
	ds_store_2addr_b32 v2, v1, v0 offset0:88 offset1:163
	v_lshlrev_b32_e32 v1, 4, v164
	v_lshlrev_b32_e32 v0, 4, v69
	global_wb scope:SCOPE_SE
	s_wait_storecnt_dscnt 0x0
	s_barrier_signal -1
	s_barrier_wait -1
	global_inv scope:SCOPE_SE
	s_clause 0x1
	global_load_b128 v[28:31], v1, s[6:7] offset:2988
	global_load_b128 v[24:27], v0, s[6:7] offset:2988
	ds_load_2addr_b32 v[64:65], v130 offset0:110 offset1:235
	s_wait_dscnt 0x0
	v_lshrrev_b32_e32 v0, 16, v64
	v_lshrrev_b32_e32 v2, 16, v65
	s_wait_loadcnt 0x1
	v_lshrrev_b32_e32 v226, 16, v28
	s_wait_loadcnt 0x0
	v_lshrrev_b32_e32 v4, 16, v24
	v_lshrrev_b32_e32 v234, 16, v29
	;; [unrolled: 1-line block ×4, first 2 shown]
	v_mul_f16_e64 v1, v64, v226
	v_mul_f16_e32 v3, v2, v4
	v_mul_f16_e32 v66, v65, v4
	v_lshrrev_b32_e32 v216, 16, v26
	v_lshrrev_b32_e32 v125, 16, v31
	v_fmac_f16_e32 v1, v0, v28
	v_mul_f16_e64 v0, v0, v226
	v_fma_f16 v69, v65, v24, -v3
	v_fmac_f16_e32 v66, v2, v24
	v_lshrrev_b32_e32 v221, 16, v27
	s_delay_alu instid0(VALU_DEP_4)
	v_fma_f16 v0, v64, v28, -v0
	ds_load_2addr_b32 v[64:65], v62 offset0:92 offset1:217
	s_wait_dscnt 0x0
	v_lshrrev_b32_e32 v3, 16, v64
	v_lshrrev_b32_e32 v5, 16, v65
	v_mul_f16_e64 v71, v65, v219
	s_delay_alu instid0(VALU_DEP_3) | instskip(NEXT) | instid1(VALU_DEP_3)
	v_mul_f16_e64 v4, v3, v234
	v_mul_f16_e64 v6, v5, v219
	s_delay_alu instid0(VALU_DEP_3) | instskip(NEXT) | instid1(VALU_DEP_3)
	v_fmac_f16_e32 v71, v5, v25
	v_fma_f16 v4, v64, v29, -v4
	s_delay_alu instid0(VALU_DEP_3)
	v_fma_f16 v70, v65, v25, -v6
	v_mul_f16_e64 v6, v64, v234
	ds_load_2addr_b32 v[64:65], v185 offset0:74 offset1:199
	v_sub_f16_e32 v17, v66, v71
	v_fmac_f16_e32 v6, v3, v29
	s_wait_dscnt 0x0
	v_lshrrev_b32_e32 v7, 16, v64
	v_lshrrev_b32_e32 v9, 16, v65
	v_mul_f16_e64 v75, v65, v216
	s_delay_alu instid0(VALU_DEP_3) | instskip(NEXT) | instid1(VALU_DEP_3)
	v_mul_f16_e64 v8, v7, v135
	v_mul_f16_e64 v10, v9, v216
	s_delay_alu instid0(VALU_DEP_3) | instskip(NEXT) | instid1(VALU_DEP_3)
	v_fmac_f16_e32 v75, v9, v26
	v_fma_f16 v8, v64, v30, -v8
	s_delay_alu instid0(VALU_DEP_3) | instskip(SKIP_3) | instid1(VALU_DEP_1)
	v_fma_f16 v74, v65, v26, -v10
	v_mul_f16_e64 v10, v64, v135
	ds_load_2addr_b32 v[64:65], v68 offset0:56 offset1:181
	v_fmac_f16_e32 v10, v7, v30
	v_sub_f16_e32 v14, v6, v10
	s_wait_dscnt 0x0
	v_lshrrev_b32_e32 v2, 16, v64
	v_mul_f16_e32 v3, v64, v125
	v_lshrrev_b32_e32 v5, 16, v65
	v_mul_f16_e64 v80, v65, v221
	s_delay_alu instid0(VALU_DEP_3) | instskip(SKIP_1) | instid1(VALU_DEP_4)
	v_fmac_f16_e32 v3, v2, v31
	v_mul_f16_e32 v2, v2, v125
	v_mul_f16_e64 v7, v5, v221
	s_delay_alu instid0(VALU_DEP_4) | instskip(NEXT) | instid1(VALU_DEP_4)
	v_fmac_f16_e32 v80, v5, v27
	v_sub_f16_e32 v11, v1, v3
	s_delay_alu instid0(VALU_DEP_4) | instskip(NEXT) | instid1(VALU_DEP_4)
	v_fma_f16 v2, v64, v31, -v2
	v_fma_f16 v81, v65, v27, -v7
	ds_load_2addr_b32 v[64:65], v165 offset1:125
	v_sub_f16_e32 v7, v0, v4
	v_sub_f16_e32 v18, v80, v75
	;; [unrolled: 1-line block ×3, first 2 shown]
	v_add_f16_e32 v13, v0, v2
	v_sub_f16_e32 v16, v8, v2
	s_delay_alu instid0(VALU_DEP_3) | instskip(SKIP_2) | instid1(VALU_DEP_1)
	v_add_f16_e32 v7, v7, v9
	v_add_f16_e32 v9, v4, v8
	s_wait_dscnt 0x0
	v_fma_f16 v9, -0.5, v9, v64
	v_add_f16_e32 v5, v64, v0
	v_fma_f16 v13, -0.5, v13, v64
	s_delay_alu instid0(VALU_DEP_3) | instskip(SKIP_1) | instid1(VALU_DEP_4)
	v_fmamk_f16 v12, v11, 0x3b9c, v9
	v_fmac_f16_e32 v9, 0xbb9c, v11
	v_add_f16_e32 v5, v5, v4
	s_delay_alu instid0(VALU_DEP_4)
	v_fmamk_f16 v15, v14, 0xbb9c, v13
	v_fmac_f16_e32 v13, 0x3b9c, v14
	v_fmac_f16_e32 v12, 0x38b4, v14
	;; [unrolled: 1-line block ×3, first 2 shown]
	v_sub_f16_e32 v14, v4, v0
	v_add_f16_e32 v5, v5, v8
	v_sub_f16_e32 v4, v4, v8
	v_fmac_f16_e32 v12, 0x34f2, v7
	v_fmac_f16_e32 v9, 0x34f2, v7
	v_lshrrev_b32_e32 v7, 16, v64
	v_add_f16_e32 v14, v14, v16
	v_fmac_f16_e32 v15, 0x38b4, v11
	v_fmac_f16_e32 v13, 0xb8b4, v11
	v_add_f16_e32 v11, v6, v10
	v_add_f16_e32 v8, v7, v1
	v_sub_f16_e32 v16, v3, v10
	v_fmac_f16_e32 v15, 0x34f2, v14
	v_fmac_f16_e32 v13, 0x34f2, v14
	v_sub_f16_e32 v14, v1, v6
	v_add_f16_e32 v8, v8, v6
	v_sub_f16_e32 v6, v6, v1
	v_add_f16_e32 v1, v1, v3
	v_sub_f16_e32 v0, v0, v2
	s_delay_alu instid0(VALU_DEP_4) | instskip(NEXT) | instid1(VALU_DEP_1)
	v_add_f16_e32 v8, v8, v10
	v_add_f16_e32 v8, v8, v3
	v_sub_f16_e32 v3, v10, v3
	v_fma_f16 v10, -0.5, v11, v7
	v_fmac_f16_e32 v7, -0.5, v1
	v_add_f16_e32 v1, v5, v2
	v_add_f16_e32 v2, v14, v16
	;; [unrolled: 1-line block ×3, first 2 shown]
	v_fmamk_f16 v6, v0, 0xbb9c, v10
	v_fmac_f16_e32 v10, 0x3b9c, v0
	v_fmamk_f16 v5, v4, 0x3b9c, v7
	v_fmac_f16_e32 v7, 0xbb9c, v4
	v_sub_f16_e32 v11, v66, v80
	v_fmac_f16_e32 v6, 0xb8b4, v4
	v_fmac_f16_e32 v10, 0x38b4, v4
	v_pack_b32_f16 v4, v1, v8
	v_fmac_f16_e32 v5, 0xb8b4, v0
	v_fmac_f16_e32 v7, 0x38b4, v0
	v_add_f16_e32 v0, v65, v69
	v_fmac_f16_e32 v10, 0x34f2, v2
	v_fmac_f16_e32 v6, 0x34f2, v2
	;; [unrolled: 1-line block ×4, first 2 shown]
	v_add_f16_e32 v0, v0, v70
	v_pack_b32_f16 v8, v9, v10
	v_lshrrev_b32_e32 v9, 16, v65
	v_pack_b32_f16 v6, v12, v6
	v_pack_b32_f16 v5, v15, v5
	v_add_f16_e32 v0, v0, v74
	v_pack_b32_f16 v7, v13, v7
	v_add_f16_e32 v1, v9, v66
	v_sub_f16_e32 v12, v70, v74
	v_sub_f16_e32 v14, v69, v81
	v_add_f16_e32 v0, v0, v81
	v_sub_f16_e32 v15, v69, v70
	v_add_f16_e32 v1, v1, v71
	v_sub_f16_e32 v16, v81, v74
	s_delay_alu instid0(VALU_DEP_2) | instskip(NEXT) | instid1(VALU_DEP_2)
	v_add_f16_e32 v1, v1, v75
	v_add_f16_e32 v15, v15, v16
	;; [unrolled: 1-line block ×3, first 2 shown]
	v_lshlrev_b32_e32 v17, 4, v72
	v_lshlrev_b32_e32 v18, 4, v96
	v_add_f16_e32 v1, v1, v80
	s_delay_alu instid0(VALU_DEP_1)
	v_pack_b32_f16 v10, v0, v1
	ds_load_2addr_b32 v[82:83], v156 offset0:122 offset1:247
	ds_load_2addr_b32 v[107:108], v224 offset0:104 offset1:229
	;; [unrolled: 1-line block ×10, first 2 shown]
	ds_store_b32 v165, v6 offset:3000
	ds_store_b32 v165, v5 offset:6000
	;; [unrolled: 1-line block ×4, first 2 shown]
	ds_store_2addr_b32 v165, v4, v10 offset1:125
	v_add_f16_e32 v4, v70, v74
	v_add_f16_e32 v5, v69, v81
	v_sub_f16_e32 v6, v74, v81
	v_add_f16_e32 v7, v66, v80
	v_sub_f16_e32 v8, v75, v80
	v_fma_f16 v4, -0.5, v4, v65
	v_fmac_f16_e32 v65, -0.5, v5
	v_sub_f16_e32 v5, v70, v69
	s_wait_dscnt 0xe
	v_lshrrev_b32_e32 v40, 16, v82
	s_wait_dscnt 0xc
	v_lshrrev_b32_e32 v19, 16, v126
	v_add_f16_e32 v5, v5, v6
	v_add_f16_e32 v6, v71, v75
	s_wait_dscnt 0xb
	v_lshrrev_b32_e32 v21, 16, v132
	s_wait_dscnt 0xa
	v_lshrrev_b32_e32 v23, 16, v228
	v_fma_f16 v6, -0.5, v6, v9
	v_fmac_f16_e32 v9, -0.5, v7
	v_sub_f16_e32 v7, v71, v66
	s_delay_alu instid0(VALU_DEP_3) | instskip(NEXT) | instid1(VALU_DEP_3)
	v_fmamk_f16 v36, v14, 0xbb9c, v6
	v_fmamk_f16 v13, v12, 0x3b9c, v9
	s_delay_alu instid0(VALU_DEP_3)
	v_add_f16_e32 v7, v7, v8
	v_sub_f16_e32 v8, v71, v75
	v_fmac_f16_e32 v9, 0xbb9c, v12
	v_fmac_f16_e32 v36, 0xb8b4, v12
	v_fmac_f16_e32 v13, 0xb8b4, v14
	v_fmac_f16_e32 v6, 0x3b9c, v14
	v_fmamk_f16 v10, v8, 0xbb9c, v65
	v_fmac_f16_e32 v65, 0x3b9c, v8
	v_fmac_f16_e32 v9, 0x38b4, v14
	;; [unrolled: 1-line block ×8, first 2 shown]
	v_lshrrev_b32_e32 v12, 16, v133
	v_fmac_f16_e32 v10, 0x34f2, v5
	v_fmac_f16_e32 v65, 0x34f2, v5
	s_delay_alu instid0(VALU_DEP_4) | instskip(NEXT) | instid1(VALU_DEP_3)
	v_fmac_f16_e32 v6, 0x34f2, v16
	v_pack_b32_f16 v10, v10, v13
	s_delay_alu instid0(VALU_DEP_3)
	v_pack_b32_f16 v9, v65, v9
	s_clause 0x1
	global_load_b128 v[68:71], v17, s[6:7] offset:2988
	global_load_b128 v[64:67], v18, s[6:7] offset:2988
	v_lshrrev_b32_e32 v17, 16, v107
	s_wait_loadcnt 0x1
	v_lshrrev_b32_e32 v99, 16, v68
	v_lshrrev_b32_e32 v241, 16, v69
	v_lshrrev_b32_e32 v240, 16, v70
	v_lshrrev_b32_e32 v237, 16, v71
	s_wait_loadcnt 0x0
	v_lshrrev_b32_e32 v110, 16, v64
	v_mul_f16_e32 v18, v107, v99
	v_mul_f16_e64 v20, v126, v241
	v_mul_f16_e64 v22, v132, v240
	;; [unrolled: 1-line block ×3, first 2 shown]
	v_lshrrev_b32_e32 v109, 16, v67
	v_fmac_f16_e32 v18, v17, v68
	v_mul_f16_e32 v17, v17, v99
	v_fmac_f16_e32 v20, v19, v69
	v_mul_f16_e64 v19, v19, v241
	v_fmac_f16_e32 v22, v21, v70
	v_mul_f16_e64 v21, v21, v240
	;; [unrolled: 2-line block ×3, first 2 shown]
	v_fma_f16 v17, v107, v68, -v17
	v_fma_f16 v19, v126, v69, -v19
	;; [unrolled: 1-line block ×3, first 2 shown]
	v_sub_f16_e32 v35, v32, v22
	v_fma_f16 v23, v228, v71, -v23
	v_add_f16_e32 v41, v20, v22
	v_sub_f16_e32 v33, v17, v19
	v_sub_f16_e32 v37, v18, v32
	;; [unrolled: 1-line block ×4, first 2 shown]
	v_fma_f16 v41, -0.5, v41, v40
	v_sub_f16_e32 v42, v17, v23
	v_sub_f16_e32 v44, v19, v21
	;; [unrolled: 1-line block ×3, first 2 shown]
	v_add_f16_e32 v33, v33, v34
	v_sub_f16_e32 v34, v18, v20
	v_fmamk_f16 v43, v42, 0xbb9c, v41
	v_sub_f16_e32 v7, v21, v23
	v_add_f16_e32 v13, v17, v23
	v_fmac_f16_e32 v41, 0x3b9c, v42
	v_add_f16_e32 v34, v34, v35
	v_fmamk_f16 v35, v11, 0x3b9c, v4
	v_fmac_f16_e32 v43, 0xb8b4, v44
	v_add_f16_e32 v5, v5, v7
	v_add_f16_e32 v7, v18, v32
	v_fma_f16 v13, -0.5, v13, v82
	v_fmac_f16_e32 v35, 0x38b4, v8
	v_fmac_f16_e32 v43, 0x34f2, v34
	;; [unrolled: 1-line block ×4, first 2 shown]
	v_lshrrev_b32_e32 v107, 16, v65
	v_fmac_f16_e32 v35, 0x34f2, v15
	s_delay_alu instid0(VALU_DEP_4) | instskip(NEXT) | instid1(VALU_DEP_4)
	v_fmac_f16_e32 v4, 0xb8b4, v8
	v_fmac_f16_e32 v41, 0x34f2, v34
	s_delay_alu instid0(VALU_DEP_3) | instskip(SKIP_1) | instid1(VALU_DEP_4)
	v_pack_b32_f16 v35, v35, v36
	v_add_f16_e32 v36, v19, v21
	v_fmac_f16_e32 v4, 0x34f2, v15
	v_lshrrev_b32_e32 v15, 16, v229
	s_delay_alu instid0(VALU_DEP_3) | instskip(NEXT) | instid1(VALU_DEP_3)
	v_fma_f16 v36, -0.5, v36, v82
	v_pack_b32_f16 v4, v4, v6
	v_mul_f16_e32 v6, v108, v110
	s_delay_alu instid0(VALU_DEP_4) | instskip(NEXT) | instid1(VALU_DEP_4)
	v_mul_f16_e32 v16, v15, v109
	v_fmamk_f16 v38, v37, 0x3b9c, v36
	v_fmac_f16_e32 v36, 0xbb9c, v37
	s_delay_alu instid0(VALU_DEP_3) | instskip(NEXT) | instid1(VALU_DEP_3)
	v_fma_f16 v16, v229, v67, -v16
	v_fmac_f16_e32 v38, 0x38b4, v39
	s_delay_alu instid0(VALU_DEP_3) | instskip(NEXT) | instid1(VALU_DEP_2)
	v_fmac_f16_e32 v36, 0xb8b4, v39
	v_fmac_f16_e32 v38, 0x34f2, v33
	s_delay_alu instid0(VALU_DEP_2) | instskip(SKIP_2) | instid1(VALU_DEP_3)
	v_fmac_f16_e32 v36, 0x34f2, v33
	s_wait_dscnt 0x6
	v_lshrrev_b32_e32 v33, 16, v1
	v_pack_b32_f16 v38, v38, v43
	v_add_nc_u32_e32 v43, 0xc00, v165
	ds_store_2addr_b32 v43, v35, v38 offset0:107 offset1:232
	v_add_f16_e32 v35, v40, v18
	v_fmac_f16_e32 v40, -0.5, v7
	v_sub_f16_e32 v7, v20, v18
	v_sub_f16_e32 v18, v22, v32
	v_mov_b32_e32 v47, v43
	v_add_nc_u32_e32 v43, 0x1800, v165
	v_fmamk_f16 v38, v44, 0x3b9c, v40
	v_fmac_f16_e32 v40, 0xbb9c, v44
	v_add_f16_e32 v7, v7, v18
	v_fmamk_f16 v18, v39, 0xbb9c, v13
	v_fmac_f16_e32 v13, 0x3b9c, v39
	v_fmac_f16_e32 v38, 0xb8b4, v42
	v_fmac_f16_e32 v40, 0x38b4, v42
	v_add_f16_e32 v11, v35, v20
	v_fmac_f16_e32 v18, 0x38b4, v37
	v_fmac_f16_e32 v13, 0xb8b4, v37
	;; [unrolled: 1-line block ×4, first 2 shown]
	v_add_nc_u32_e32 v7, 0x2400, v165
	v_fmac_f16_e32 v18, 0x34f2, v5
	v_fmac_f16_e32 v13, 0x34f2, v5
	v_add_f16_e32 v11, v11, v22
	s_wait_dscnt 0x6
	v_lshrrev_b32_e32 v35, 16, v3
	v_mov_b32_e32 v46, v7
	v_pack_b32_f16 v18, v18, v38
	v_pack_b32_f16 v5, v13, v40
	v_add_nc_u32_e32 v40, 0x3000, v165
	v_add_f16_e32 v11, v11, v32
	v_mov_b32_e32 v44, v45
	ds_store_2addr_b32 v43, v10, v18 offset0:89 offset1:214
	v_add_f16_e32 v10, v82, v17
	ds_store_2addr_b32 v7, v9, v5 offset0:71 offset1:196
	v_pack_b32_f16 v5, v36, v41
	v_lshrrev_b32_e32 v7, 16, v127
	v_mul_f16_e32 v9, v127, v107
	v_add_f16_e32 v10, v10, v19
	v_mul_f16_e64 v17, v229, v109
	ds_store_2addr_b32 v40, v4, v5 offset0:53 offset1:178
	v_lshrrev_b32_e32 v4, 16, v108
	v_mul_f16_e32 v8, v7, v107
	v_add_f16_e32 v10, v10, v21
	v_fmac_f16_e32 v9, v7, v65
	v_fmac_f16_e32 v17, v15, v67
	v_mul_f16_e32 v5, v4, v110
	v_fmac_f16_e32 v6, v4, v64
	v_add_f16_e32 v10, v10, v23
	v_fma_f16 v8, v127, v65, -v8
	s_delay_alu instid0(VALU_DEP_4) | instskip(SKIP_1) | instid1(VALU_DEP_4)
	v_fma_f16 v5, v108, v64, -v5
	v_lshrrev_b32_e32 v108, 16, v66
	v_pack_b32_f16 v4, v10, v11
	v_lshrrev_b32_e32 v10, 16, v83
	v_sub_f16_e32 v19, v6, v17
	v_add_f16_e32 v7, v83, v5
	v_mul_f16_e32 v13, v12, v108
	v_mul_f16_e64 v14, v133, v108
	v_add_f16_e32 v11, v10, v6
	v_sub_f16_e32 v22, v5, v16
	v_add_f16_e32 v7, v7, v8
	v_fma_f16 v13, v133, v66, -v13
	v_fmac_f16_e32 v14, v12, v66
	v_add_f16_e32 v11, v11, v9
	v_add_f16_e32 v12, v6, v17
	s_delay_alu instid0(VALU_DEP_4) | instskip(NEXT) | instid1(VALU_DEP_4)
	v_add_f16_e32 v7, v7, v13
	v_sub_f16_e32 v15, v14, v17
	s_delay_alu instid0(VALU_DEP_4) | instskip(SKIP_1) | instid1(VALU_DEP_4)
	v_add_f16_e32 v11, v11, v14
	v_sub_f16_e32 v20, v8, v13
	v_add_f16_e32 v7, v7, v16
	s_delay_alu instid0(VALU_DEP_3) | instskip(NEXT) | instid1(VALU_DEP_1)
	v_add_f16_e32 v11, v11, v17
	v_pack_b32_f16 v7, v7, v11
	v_sub_f16_e32 v11, v13, v16
	ds_store_2addr_b32 v156, v4, v7 offset0:122 offset1:247
	v_add_f16_e32 v4, v8, v13
	v_add_f16_e32 v7, v5, v16
	s_delay_alu instid0(VALU_DEP_2) | instskip(NEXT) | instid1(VALU_DEP_2)
	v_fma_f16 v4, -0.5, v4, v83
	v_fmac_f16_e32 v83, -0.5, v7
	v_sub_f16_e32 v7, v8, v5
	v_sub_f16_e32 v5, v5, v8
	;; [unrolled: 1-line block ×3, first 2 shown]
	v_lshrrev_b32_e32 v13, 16, v0
	s_delay_alu instid0(VALU_DEP_4) | instskip(SKIP_1) | instid1(VALU_DEP_4)
	v_add_f16_e32 v7, v7, v11
	v_add_f16_e32 v11, v9, v14
	;; [unrolled: 1-line block ×3, first 2 shown]
	v_sub_f16_e32 v8, v17, v14
	s_delay_alu instid0(VALU_DEP_3) | instskip(SKIP_3) | instid1(VALU_DEP_3)
	v_fma_f16 v11, -0.5, v11, v10
	v_fmac_f16_e32 v10, -0.5, v12
	v_sub_f16_e32 v12, v9, v6
	v_sub_f16_e32 v6, v6, v9
	v_fmamk_f16 v21, v20, 0x3b9c, v10
	s_delay_alu instid0(VALU_DEP_3)
	v_add_f16_e32 v12, v12, v15
	v_sub_f16_e32 v15, v9, v14
	v_fmac_f16_e32 v10, 0xbb9c, v20
	v_fmamk_f16 v9, v19, 0x3b9c, v4
	v_fmac_f16_e32 v4, 0xbb9c, v19
	v_add_f16_e32 v6, v6, v8
	v_fmamk_f16 v18, v15, 0xbb9c, v83
	v_fmac_f16_e32 v83, 0x3b9c, v15
	v_fmamk_f16 v8, v22, 0xbb9c, v11
	v_fmac_f16_e32 v11, 0x3b9c, v22
	v_fmac_f16_e32 v10, 0x38b4, v22
	;; [unrolled: 1-line block ×11, first 2 shown]
	v_lshlrev_b32_e32 v5, 4, v111
	v_fmac_f16_e32 v8, 0x34f2, v6
	v_fmac_f16_e32 v11, 0x34f2, v6
	v_lshlrev_b32_e32 v6, 4, v112
	v_pack_b32_f16 v10, v83, v10
	s_clause 0x1
	global_load_b128 v[80:83], v5, s[6:7] offset:2988
	global_load_b128 v[72:75], v6, s[6:7] offset:2988
	v_fmac_f16_e32 v18, 0x38b4, v19
	v_fmac_f16_e32 v21, 0xb8b4, v22
	v_lshrrev_b32_e32 v5, 16, v230
	v_lshrrev_b32_e32 v15, 16, v2
	v_pack_b32_f16 v4, v4, v11
	v_fmac_f16_e32 v18, 0x34f2, v7
	v_fmac_f16_e32 v21, 0x34f2, v12
	v_lshrrev_b32_e32 v7, 16, v232
	v_pack_b32_f16 v8, v9, v8
	v_lshrrev_b32_e32 v22, 16, v233
	s_wait_loadcnt 0x1
	v_lshrrev_b32_e32 v132, 16, v80
	v_lshrrev_b32_e32 v188, 16, v81
	;; [unrolled: 1-line block ×4, first 2 shown]
	s_wait_loadcnt 0x0
	v_lshrrev_b32_e32 v191, 16, v72
	v_mul_f16_e64 v6, v230, v132
	v_mul_f16_e64 v12, v232, v188
	;; [unrolled: 1-line block ×3, first 2 shown]
	v_mul_f16_e32 v16, v2, v126
	v_lshrrev_b32_e32 v133, 16, v73
	v_fmac_f16_e32 v6, v5, v80
	v_mul_f16_e64 v5, v5, v132
	v_fmac_f16_e32 v12, v7, v81
	v_mul_f16_e64 v7, v7, v188
	;; [unrolled: 2-line block ×3, first 2 shown]
	v_fmac_f16_e32 v16, v15, v83
	v_mul_f16_e32 v15, v15, v126
	v_fma_f16 v5, v230, v80, -v5
	v_fma_f16 v7, v232, v81, -v7
	;; [unrolled: 1-line block ×3, first 2 shown]
	v_sub_f16_e32 v11, v6, v12
	v_fma_f16 v2, v2, v83, -v15
	v_sub_f16_e32 v17, v16, v14
	v_sub_f16_e32 v13, v5, v7
	;; [unrolled: 1-line block ×3, first 2 shown]
	v_mul_f16_e64 v32, v233, v133
	v_sub_f16_e32 v15, v2, v0
	v_add_f16_e32 v11, v11, v17
	v_lshrrev_b32_e32 v17, 16, v97
	v_sub_f16_e32 v19, v5, v2
	v_mul_f16_e64 v23, v22, v133
	v_add_f16_e32 v13, v13, v15
	v_pack_b32_f16 v15, v18, v21
	ds_store_b32 v165, v15 offset:7500
	ds_store_b32 v165, v10 offset:10500
	;; [unrolled: 1-line block ×3, first 2 shown]
	v_add_f16_e32 v4, v7, v0
	v_add_f16_e32 v18, v12, v14
	v_sub_f16_e32 v15, v12, v14
	v_sub_f16_e32 v21, v7, v0
	v_lshrrev_b32_e32 v115, 16, v74
	v_fma_f16 v4, -0.5, v4, v97
	v_fma_f16 v18, -0.5, v18, v17
	v_fmac_f16_e32 v32, v22, v73
	v_add_f16_e32 v22, v17, v6
	v_mul_f16_e32 v34, v33, v115
	v_fmamk_f16 v10, v9, 0x3b9c, v4
	v_fmamk_f16 v20, v19, 0xbb9c, v18
	v_lshrrev_b32_e32 v182, 16, v75
	v_add_f16_e32 v22, v22, v12
	v_fma_f16 v34, v1, v74, -v34
	v_fmac_f16_e32 v10, 0x38b4, v15
	v_fmac_f16_e32 v20, 0xb8b4, v21
	v_mul_f16_e32 v1, v1, v115
	v_mul_f16_e64 v36, v35, v182
	v_add_f16_e32 v22, v22, v14
	v_fmac_f16_e32 v10, 0x34f2, v13
	v_fmac_f16_e32 v20, 0x34f2, v11
	;; [unrolled: 1-line block ×3, first 2 shown]
	v_fma_f16 v36, v3, v75, -v36
	v_mul_f16_e64 v3, v3, v182
	v_add_f16_e32 v22, v22, v16
	v_pack_b32_f16 v10, v10, v20
	v_add_nc_u32_e32 v20, 0x1000, v165
	v_lshrrev_b32_e32 v33, 16, v98
	v_fma_f16 v23, v233, v73, -v23
	v_fmac_f16_e32 v3, v35, v75
	v_fmac_f16_e32 v4, 0xbb9c, v9
	ds_store_2addr_b32 v20, v8, v10 offset0:101 offset1:226
	v_mov_b32_e32 v41, v20
	v_lshrrev_b32_e32 v8, 16, v231
	v_mul_f16_e64 v20, v231, v191
	v_sub_f16_e32 v37, v23, v34
	v_fmac_f16_e32 v18, 0x3b9c, v19
	v_fmac_f16_e32 v4, 0xb8b4, v15
	v_mul_f16_e64 v10, v8, v191
	v_fmac_f16_e32 v20, v8, v72
	v_add_f16_e32 v8, v97, v5
	v_fmac_f16_e32 v18, 0x38b4, v21
	v_fmac_f16_e32 v4, 0x34f2, v13
	v_fma_f16 v10, v231, v72, -v10
	v_add_f16_e32 v35, v33, v20
	v_add_f16_e32 v8, v8, v7
	v_sub_f16_e32 v7, v7, v5
	v_fmac_f16_e32 v18, 0x34f2, v11
	v_sub_f16_e32 v38, v10, v36
	v_add_f16_e32 v35, v35, v32
	v_add_f16_e32 v8, v8, v0
	v_sub_f16_e32 v0, v0, v2
	s_delay_alu instid0(VALU_DEP_3) | instskip(NEXT) | instid1(VALU_DEP_3)
	v_add_f16_e32 v35, v35, v1
	v_add_f16_e32 v8, v8, v2
	s_delay_alu instid0(VALU_DEP_3)
	v_add_f16_e32 v0, v7, v0
	v_add_f16_e32 v7, v10, v36
	;; [unrolled: 1-line block ×4, first 2 shown]
	v_pack_b32_f16 v8, v8, v22
	v_add_f16_e32 v22, v98, v10
	s_delay_alu instid0(VALU_DEP_4) | instskip(NEXT) | instid1(VALU_DEP_2)
	v_fma_f16 v2, -0.5, v2, v97
	v_add_f16_e32 v22, v22, v23
	s_delay_alu instid0(VALU_DEP_1) | instskip(NEXT) | instid1(VALU_DEP_1)
	v_add_f16_e32 v22, v22, v34
	v_add_f16_e32 v22, v22, v36
	s_delay_alu instid0(VALU_DEP_1)
	v_pack_b32_f16 v22, v22, v35
	ds_store_2addr_b32 v144, v8, v22 offset0:116 offset1:241
	v_sub_f16_e32 v8, v12, v6
	v_add_f16_e32 v6, v6, v16
	v_sub_f16_e32 v12, v14, v16
	v_sub_f16_e32 v14, v1, v3
	;; [unrolled: 1-line block ×3, first 2 shown]
	s_delay_alu instid0(VALU_DEP_4)
	v_fmac_f16_e32 v17, -0.5, v6
	v_add_f16_e32 v6, v23, v34
	v_add_f16_e32 v5, v8, v12
	v_sub_f16_e32 v8, v34, v36
	v_add_f16_e32 v12, v20, v3
	v_fmamk_f16 v16, v21, 0x3b9c, v17
	v_fma_f16 v6, -0.5, v6, v98
	v_fmac_f16_e32 v98, -0.5, v7
	v_sub_f16_e32 v7, v23, v10
	v_fmac_f16_e32 v17, 0xbb9c, v21
	v_fmac_f16_e32 v16, 0xb8b4, v19
	s_delay_alu instid0(VALU_DEP_3) | instskip(SKIP_1) | instid1(VALU_DEP_3)
	v_add_f16_e32 v7, v7, v8
	v_add_f16_e32 v8, v32, v1
	v_fmac_f16_e32 v16, 0x34f2, v5
	v_fmac_f16_e32 v17, 0x38b4, v19
	s_delay_alu instid0(VALU_DEP_3) | instskip(SKIP_2) | instid1(VALU_DEP_4)
	v_fma_f16 v8, -0.5, v8, v33
	v_fmac_f16_e32 v33, -0.5, v12
	v_sub_f16_e32 v12, v32, v20
	v_fmac_f16_e32 v17, 0x34f2, v5
	v_sub_f16_e32 v5, v20, v32
	s_delay_alu instid0(VALU_DEP_4) | instskip(NEXT) | instid1(VALU_DEP_4)
	v_fmamk_f16 v39, v37, 0x3b9c, v33
	v_add_f16_e32 v12, v12, v14
	v_fmamk_f16 v14, v15, 0xbb9c, v2
	v_fmac_f16_e32 v33, 0xbb9c, v37
	v_fmac_f16_e32 v2, 0x3b9c, v15
	v_fmac_f16_e32 v39, 0xb8b4, v38
	s_delay_alu instid0(VALU_DEP_4) | instskip(NEXT) | instid1(VALU_DEP_4)
	v_fmac_f16_e32 v14, 0x38b4, v9
	v_fmac_f16_e32 v33, 0x38b4, v38
	s_delay_alu instid0(VALU_DEP_4) | instskip(NEXT) | instid1(VALU_DEP_4)
	v_fmac_f16_e32 v2, 0xb8b4, v9
	v_fmac_f16_e32 v39, 0x34f2, v12
	;; [unrolled: 3-line block ×3, first 2 shown]
	s_delay_alu instid0(VALU_DEP_4) | instskip(NEXT) | instid1(VALU_DEP_3)
	v_fmac_f16_e32 v2, 0x34f2, v0
	v_pack_b32_f16 v14, v14, v16
	v_sub_f16_e32 v16, v32, v1
	s_delay_alu instid0(VALU_DEP_3)
	v_pack_b32_f16 v0, v2, v17
	v_sub_f16_e32 v2, v36, v34
	v_sub_f16_e32 v1, v3, v1
	v_fmamk_f16 v3, v22, 0x3b9c, v6
	v_fmamk_f16 v35, v16, 0xbb9c, v98
	v_fmac_f16_e32 v98, 0x3b9c, v16
	v_fmac_f16_e32 v6, 0xbb9c, v22
	v_add_f16_e32 v1, v5, v1
	v_fmac_f16_e32 v3, 0x38b4, v16
	v_fmac_f16_e32 v35, 0x38b4, v22
	;; [unrolled: 1-line block ×4, first 2 shown]
	s_delay_alu instid0(VALU_DEP_3) | instskip(NEXT) | instid1(VALU_DEP_3)
	v_fmac_f16_e32 v35, 0x34f2, v7
	v_fmac_f16_e32 v98, 0x34f2, v7
	s_delay_alu instid0(VALU_DEP_2) | instskip(NEXT) | instid1(VALU_DEP_2)
	v_pack_b32_f16 v35, v35, v39
	v_pack_b32_f16 v7, v98, v33
	ds_store_2addr_b32 v142, v14, v35 offset0:80 offset1:205
	ds_store_2addr_b32 v250, v0, v7 offset0:62 offset1:187
	v_sub_f16_e32 v0, v10, v23
	v_fmamk_f16 v7, v38, 0xbb9c, v8
	v_fmac_f16_e32 v8, 0x3b9c, v38
	s_delay_alu instid0(VALU_DEP_3) | instskip(NEXT) | instid1(VALU_DEP_3)
	v_add_f16_e32 v0, v0, v2
	v_fmac_f16_e32 v7, 0xb8b4, v37
	s_delay_alu instid0(VALU_DEP_3) | instskip(SKIP_1) | instid1(VALU_DEP_4)
	v_fmac_f16_e32 v8, 0x38b4, v37
	v_pack_b32_f16 v2, v4, v18
	v_fmac_f16_e32 v6, 0x34f2, v0
	v_fmac_f16_e32 v3, 0x34f2, v0
	s_delay_alu instid0(VALU_DEP_4) | instskip(SKIP_1) | instid1(VALU_DEP_2)
	v_fmac_f16_e32 v8, 0x34f2, v1
	v_fmac_f16_e32 v7, 0x34f2, v1
	v_pack_b32_f16 v4, v6, v8
	s_delay_alu instid0(VALU_DEP_2)
	v_pack_b32_f16 v0, v3, v7
	ds_store_2addr_b32 v154, v2, v4 offset0:44 offset1:169
	ds_store_b32 v165, v0 offset:5500
	global_wb scope:SCOPE_SE
	s_wait_dscnt 0x0
	s_barrier_signal -1
	s_barrier_wait -1
	global_inv scope:SCOPE_SE
	s_clause 0x1
	global_load_b32 v0, v165, s[4:5] offset:15000
	global_load_b32 v9, v165, s[2:3] offset:14500
	ds_load_2addr_b32 v[7:8], v165 offset1:125
	s_wait_dscnt 0x0
	v_lshrrev_b32_e32 v2, 16, v7
	s_wait_loadcnt 0x1
	v_lshrrev_b32_e32 v1, 16, v0
	s_delay_alu instid0(VALU_DEP_1) | instskip(NEXT) | instid1(VALU_DEP_3)
	v_mul_f16_e32 v3, v7, v1
	v_mul_f16_e32 v1, v2, v1
	s_delay_alu instid0(VALU_DEP_2) | instskip(NEXT) | instid1(VALU_DEP_2)
	v_fmac_f16_e32 v3, v2, v0
	v_fma_f16 v0, v7, v0, -v1
	s_delay_alu instid0(VALU_DEP_1)
	v_pack_b32_f16 v0, v0, v3
	ds_store_b32 v165, v0
	s_clause 0x5
	global_load_b32 v0, v165, s[2:3] offset:5500
	global_load_b32 v1, v165, s[2:3] offset:6000
	;; [unrolled: 1-line block ×6, first 2 shown]
	ds_load_2addr_b32 v[2:3], v174 offset0:98 offset1:223
	ds_load_2addr_b32 v[97:98], v62 offset0:92 offset1:217
	s_wait_dscnt 0x1
	v_lshrrev_b32_e32 v5, 16, v3
	s_wait_loadcnt 0x5
	v_lshrrev_b32_e32 v4, 16, v0
	s_delay_alu instid0(VALU_DEP_1) | instskip(NEXT) | instid1(VALU_DEP_3)
	v_mul_f16_e32 v6, v3, v4
	v_mul_f16_e32 v4, v5, v4
	s_delay_alu instid0(VALU_DEP_2) | instskip(NEXT) | instid1(VALU_DEP_2)
	v_fmac_f16_e32 v6, v5, v0
	v_fma_f16 v0, v3, v0, -v4
	s_wait_loadcnt 0x4
	v_lshrrev_b32_e32 v3, 16, v1
	s_wait_dscnt 0x0
	v_lshrrev_b32_e32 v4, 16, v97
	v_pack_b32_f16 v0, v0, v6
	s_delay_alu instid0(VALU_DEP_3) | instskip(NEXT) | instid1(VALU_DEP_3)
	v_mul_f16_e32 v5, v97, v3
	v_mul_f16_e32 v3, v4, v3
	s_delay_alu instid0(VALU_DEP_2) | instskip(NEXT) | instid1(VALU_DEP_2)
	v_fmac_f16_e32 v5, v4, v1
	v_fma_f16 v1, v97, v1, -v3
	v_add_nc_u32_e32 v3, 0x1400, v165
	s_delay_alu instid0(VALU_DEP_2)
	v_pack_b32_f16 v1, v1, v5
	ds_store_2addr_b32 v3, v0, v1 offset0:95 offset1:220
	s_clause 0x4
	global_load_b32 v0, v165, s[2:3] offset:10500
	global_load_b32 v1, v165, s[2:3] offset:11000
	;; [unrolled: 1-line block ×5, first 2 shown]
	ds_load_2addr_b32 v[228:229], v243 offset0:68 offset1:193
	s_wait_dscnt 0x0
	v_lshrrev_b32_e32 v6, 16, v229
	s_wait_loadcnt 0x4
	v_lshrrev_b32_e32 v5, 16, v0
	s_delay_alu instid0(VALU_DEP_1) | instskip(NEXT) | instid1(VALU_DEP_3)
	v_mul_f16_e64 v14, v229, v5
	v_mul_f16_e32 v5, v6, v5
	s_delay_alu instid0(VALU_DEP_2) | instskip(NEXT) | instid1(VALU_DEP_2)
	v_fmac_f16_e32 v14, v6, v0
	v_fma_f16 v0, v229, v0, -v5
	ds_load_2addr_b32 v[229:230], v250 offset0:62 offset1:187
	s_wait_loadcnt 0x3
	v_lshrrev_b32_e32 v5, 16, v1
	v_pack_b32_f16 v0, v0, v14
	s_wait_dscnt 0x0
	v_lshrrev_b32_e32 v6, 16, v229
	s_delay_alu instid0(VALU_DEP_3) | instskip(NEXT) | instid1(VALU_DEP_2)
	v_mul_f16_e64 v15, v229, v5
	v_mul_f16_e32 v5, v6, v5
	s_delay_alu instid0(VALU_DEP_2) | instskip(NEXT) | instid1(VALU_DEP_2)
	v_fmac_f16_e32 v15, v6, v1
	v_fma_f16 v1, v229, v1, -v5
	v_add_nc_u32_e32 v5, 0x2800, v165
	s_delay_alu instid0(VALU_DEP_2)
	v_pack_b32_f16 v1, v1, v15
	ds_store_2addr_b32 v5, v0, v1 offset0:65 offset1:190
	s_clause 0x6
	global_load_b32 v0, v165, s[2:3] offset:1500
	global_load_b32 v1, v165, s[2:3] offset:2000
	;; [unrolled: 1-line block ×7, first 2 shown]
	ds_load_2addr_b32 v[231:232], v156 offset0:122 offset1:247
	s_wait_dscnt 0x0
	v_lshrrev_b32_e32 v18, 16, v232
	s_wait_loadcnt 0x6
	v_lshrrev_b32_e32 v17, 16, v0
	s_delay_alu instid0(VALU_DEP_1) | instskip(NEXT) | instid1(VALU_DEP_3)
	v_mul_f16_e64 v19, v232, v17
	v_mul_f16_e32 v17, v18, v17
	s_delay_alu instid0(VALU_DEP_2) | instskip(NEXT) | instid1(VALU_DEP_2)
	v_fmac_f16_e32 v19, v18, v0
	v_fma_f16 v0, v232, v0, -v17
	ds_load_2addr_b32 v[232:233], v144 offset0:116 offset1:241
	s_wait_loadcnt 0x5
	v_lshrrev_b32_e32 v17, 16, v1
	v_pack_b32_f16 v0, v0, v19
	s_wait_dscnt 0x0
	v_lshrrev_b32_e32 v18, 16, v232
	s_delay_alu instid0(VALU_DEP_3) | instskip(NEXT) | instid1(VALU_DEP_2)
	v_mul_f16_e64 v20, v232, v17
	v_mul_f16_e32 v17, v18, v17
	s_delay_alu instid0(VALU_DEP_2) | instskip(NEXT) | instid1(VALU_DEP_2)
	v_fmac_f16_e32 v20, v18, v1
	v_fma_f16 v1, v232, v1, -v17
	v_add_nc_u32_e32 v17, 0x400, v165
	s_delay_alu instid0(VALU_DEP_2) | instskip(SKIP_3) | instid1(VALU_DEP_1)
	v_pack_b32_f16 v1, v1, v20
	ds_store_2addr_b32 v17, v0, v1 offset0:119 offset1:244
	v_lshrrev_b32_e32 v0, 16, v230
	v_lshrrev_b32_e32 v1, 16, v3
	v_mul_f16_e32 v17, v0, v1
	v_mul_f16_e64 v1, v230, v1
	s_delay_alu instid0(VALU_DEP_2) | instskip(SKIP_3) | instid1(VALU_DEP_2)
	v_fma_f16 v17, v230, v3, -v17
	ds_load_2addr_b32 v[229:230], v45 offset0:56 offset1:181
	v_fmac_f16_e32 v1, v0, v3
	v_lshrrev_b32_e32 v0, 16, v4
	v_pack_b32_f16 v1, v17, v1
	s_wait_dscnt 0x0
	v_lshrrev_b32_e32 v3, 16, v229
	s_delay_alu instid0(VALU_DEP_3) | instskip(NEXT) | instid1(VALU_DEP_2)
	v_mul_f16_e64 v18, v229, v0
	v_mul_f16_e32 v0, v3, v0
	s_delay_alu instid0(VALU_DEP_2) | instskip(SKIP_1) | instid1(VALU_DEP_3)
	v_fmac_f16_e32 v18, v3, v4
	v_add_nc_u32_e32 v3, 0x2c00, v165
	v_fma_f16 v0, v229, v4, -v0
	s_delay_alu instid0(VALU_DEP_1) | instskip(SKIP_4) | instid1(VALU_DEP_1)
	v_pack_b32_f16 v0, v0, v18
	ds_store_2addr_b32 v3, v1, v0 offset0:59 offset1:184
	v_lshrrev_b32_e32 v0, 16, v233
	s_wait_loadcnt 0x4
	v_lshrrev_b32_e32 v1, 16, v5
	v_mul_f16_e32 v3, v0, v1
	v_mul_f16_e64 v1, v233, v1
	s_delay_alu instid0(VALU_DEP_2) | instskip(SKIP_4) | instid1(VALU_DEP_2)
	v_fma_f16 v3, v233, v5, -v3
	ds_load_2addr_b32 v[232:233], v130 offset0:110 offset1:235
	v_fmac_f16_e32 v1, v0, v5
	s_wait_loadcnt 0x3
	v_lshrrev_b32_e32 v0, 16, v6
	v_pack_b32_f16 v1, v3, v1
	v_add_nc_u32_e32 v3, 0x800, v165
	s_wait_dscnt 0x0
	v_lshrrev_b32_e32 v4, 16, v232
	v_mul_f16_e64 v5, v232, v0
	s_delay_alu instid0(VALU_DEP_2) | instskip(NEXT) | instid1(VALU_DEP_2)
	v_mul_f16_e32 v0, v4, v0
	v_fmac_f16_e32 v5, v4, v6
	s_delay_alu instid0(VALU_DEP_2) | instskip(NEXT) | instid1(VALU_DEP_1)
	v_fma_f16 v0, v232, v6, -v0
	v_pack_b32_f16 v0, v0, v5
	ds_load_2addr_b32 v[5:6], v101 offset0:86 offset1:211
	ds_store_2addr_b32 v3, v1, v0 offset0:113 offset1:238
	global_load_b32 v0, v165, s[2:3] offset:7500
	s_wait_dscnt 0x1
	v_lshrrev_b32_e32 v3, 16, v6
	s_wait_loadcnt 0x0
	v_lshrrev_b32_e32 v1, 16, v0
	s_delay_alu instid0(VALU_DEP_1) | instskip(NEXT) | instid1(VALU_DEP_3)
	v_mul_f16_e32 v17, v6, v1
	v_mul_f16_e32 v1, v3, v1
	s_delay_alu instid0(VALU_DEP_2) | instskip(SKIP_3) | instid1(VALU_DEP_2)
	v_fmac_f16_e32 v17, v3, v0
	ds_load_2addr_b32 v[3:4], v142 offset0:80 offset1:205
	v_fma_f16 v0, v6, v0, -v1
	v_lshrrev_b32_e32 v1, 16, v7
	v_pack_b32_f16 v0, v0, v17
	s_wait_dscnt 0x0
	v_lshrrev_b32_e32 v6, 16, v3
	s_delay_alu instid0(VALU_DEP_3) | instskip(NEXT) | instid1(VALU_DEP_2)
	v_mul_f16_e32 v18, v3, v1
	v_mul_f16_e32 v1, v6, v1
	s_delay_alu instid0(VALU_DEP_2) | instskip(NEXT) | instid1(VALU_DEP_2)
	v_fmac_f16_e32 v18, v6, v7
	v_fma_f16 v1, v3, v7, -v1
	v_add_nc_u32_e32 v3, 0x1c00, v165
	s_delay_alu instid0(VALU_DEP_2)
	v_pack_b32_f16 v1, v1, v18
	ds_store_2addr_b32 v3, v0, v1 offset0:83 offset1:208
	s_clause 0x1
	global_load_b32 v0, v165, s[2:3] offset:8500
	global_load_b32 v1, v165, s[2:3] offset:9000
	v_lshrrev_b32_e32 v3, 16, v4
	global_load_b32 v17, v165, s[2:3] offset:9500
	s_wait_loadcnt 0x2
	v_lshrrev_b32_e32 v6, 16, v0
	s_delay_alu instid0(VALU_DEP_1) | instskip(SKIP_1) | instid1(VALU_DEP_2)
	v_mul_f16_e32 v7, v3, v6
	v_mul_f16_e32 v6, v4, v6
	v_fma_f16 v7, v4, v0, -v7
	s_delay_alu instid0(VALU_DEP_2)
	v_fmac_f16_e32 v6, v3, v0
	ds_load_2addr_b32 v[3:4], v185 offset0:74 offset1:199
	s_wait_loadcnt 0x1
	v_lshrrev_b32_e32 v0, 16, v1
	s_wait_dscnt 0x0
	v_lshrrev_b32_e32 v18, 16, v3
	s_delay_alu instid0(VALU_DEP_2) | instskip(NEXT) | instid1(VALU_DEP_2)
	v_mul_f16_e32 v19, v3, v0
	v_mul_f16_e32 v0, v18, v0
	s_delay_alu instid0(VALU_DEP_2) | instskip(NEXT) | instid1(VALU_DEP_2)
	v_fmac_f16_e32 v19, v18, v1
	v_fma_f16 v0, v3, v1, -v0
	v_pack_b32_f16 v1, v7, v6
	v_add_nc_u32_e32 v3, 0x2000, v165
	s_delay_alu instid0(VALU_DEP_3)
	v_pack_b32_f16 v0, v0, v19
	ds_store_2addr_b32 v3, v1, v0 offset0:77 offset1:202
	s_clause 0x2
	global_load_b32 v3, v165, s[2:3] offset:13500
	global_load_b32 v18, v165, s[2:3] offset:14000
	;; [unrolled: 1-line block ×3, first 2 shown]
	ds_load_2addr_b32 v[0:1], v100 offset0:50 offset1:175
	s_wait_dscnt 0x0
	v_lshrrev_b32_e32 v7, 16, v1
	s_wait_loadcnt 0x2
	v_lshrrev_b32_e32 v6, 16, v3
	s_delay_alu instid0(VALU_DEP_1) | instskip(NEXT) | instid1(VALU_DEP_3)
	v_mul_f16_e32 v20, v1, v6
	v_mul_f16_e32 v6, v7, v6
	s_delay_alu instid0(VALU_DEP_2) | instskip(NEXT) | instid1(VALU_DEP_2)
	v_fmac_f16_e32 v20, v7, v3
	v_fma_f16 v1, v1, v3, -v6
	ds_load_2addr_b32 v[6:7], v154 offset0:44 offset1:169
	s_wait_loadcnt 0x1
	v_lshrrev_b32_e32 v3, 16, v18
	v_pack_b32_f16 v1, v1, v20
	s_wait_dscnt 0x0
	v_lshrrev_b32_e32 v21, 16, v6
	s_delay_alu instid0(VALU_DEP_3) | instskip(NEXT) | instid1(VALU_DEP_2)
	v_mul_f16_e32 v22, v6, v3
	v_mul_f16_e32 v3, v21, v3
	s_delay_alu instid0(VALU_DEP_2) | instskip(NEXT) | instid1(VALU_DEP_2)
	v_fmac_f16_e32 v22, v21, v18
	v_fma_f16 v3, v6, v18, -v3
	v_add_nc_u32_e32 v6, 0x3400, v165
	s_delay_alu instid0(VALU_DEP_2)
	v_pack_b32_f16 v3, v3, v22
	ds_store_2addr_b32 v6, v1, v3 offset0:47 offset1:172
	v_lshrrev_b32_e32 v1, 16, v2
	v_lshrrev_b32_e32 v6, 16, v12
	global_load_b32 v3, v165, s[2:3] offset:4500
	v_mul_f16_e32 v18, v1, v6
	v_mul_f16_e32 v6, v2, v6
	s_delay_alu instid0(VALU_DEP_2) | instskip(NEXT) | instid1(VALU_DEP_2)
	v_fma_f16 v2, v2, v12, -v18
	v_fmac_f16_e32 v6, v1, v12
	global_load_b32 v1, v165, s[2:3] offset:500
	v_lshrrev_b32_e32 v12, 16, v8
	s_wait_loadcnt 0x0
	v_lshrrev_b32_e32 v18, 16, v1
	s_delay_alu instid0(VALU_DEP_1) | instskip(SKIP_1) | instid1(VALU_DEP_2)
	v_mul_f16_e32 v20, v12, v18
	v_mul_f16_e32 v18, v8, v18
	v_fma_f16 v8, v8, v1, -v20
	s_delay_alu instid0(VALU_DEP_2) | instskip(SKIP_2) | instid1(VALU_DEP_1)
	v_fmac_f16_e32 v18, v12, v1
	v_lshrrev_b32_e32 v1, 16, v231
	v_lshrrev_b32_e32 v12, 16, v16
	v_mul_f16_e32 v20, v1, v12
	v_mul_f16_e64 v12, v231, v12
	s_delay_alu instid0(VALU_DEP_2) | instskip(NEXT) | instid1(VALU_DEP_2)
	v_fma_f16 v20, v231, v16, -v20
	v_fmac_f16_e32 v12, v1, v16
	v_lshrrev_b32_e32 v1, 16, v228
	v_lshrrev_b32_e32 v16, 16, v13
	s_delay_alu instid0(VALU_DEP_1) | instskip(SKIP_1) | instid1(VALU_DEP_2)
	v_mul_f16_e32 v21, v1, v16
	v_mul_f16_e64 v16, v228, v16
	v_fma_f16 v21, v228, v13, -v21
	s_delay_alu instid0(VALU_DEP_2)
	v_fmac_f16_e32 v16, v1, v13
	v_pack_b32_f16 v1, v8, v18
	v_pack_b32_f16 v8, v20, v12
	ds_store_2addr_b32 v165, v1, v8 offset0:125 offset1:250
	v_lshrrev_b32_e32 v1, 16, v98
	v_lshrrev_b32_e32 v8, 16, v10
	s_delay_alu instid0(VALU_DEP_1) | instskip(SKIP_1) | instid1(VALU_DEP_2)
	v_mul_f16_e32 v12, v1, v8
	v_mul_f16_e32 v8, v98, v8
	v_fma_f16 v12, v98, v10, -v12
	s_delay_alu instid0(VALU_DEP_2) | instskip(SKIP_2) | instid1(VALU_DEP_1)
	v_fmac_f16_e32 v8, v1, v10
	v_lshrrev_b32_e32 v1, 16, v5
	v_lshrrev_b32_e32 v10, 16, v11
	v_mul_f16_e32 v13, v1, v10
	v_mul_f16_e32 v10, v5, v10
	s_delay_alu instid0(VALU_DEP_2) | instskip(NEXT) | instid1(VALU_DEP_2)
	v_fma_f16 v5, v5, v11, -v13
	v_fmac_f16_e32 v10, v1, v11
	global_load_b32 v1, v165, s[2:3] offset:12500
	v_lshrrev_b32_e32 v11, 16, v230
	v_pack_b32_f16 v5, v5, v10
	v_lshrrev_b32_e32 v10, 16, v15
	s_wait_loadcnt 0x0
	v_lshrrev_b32_e32 v13, 16, v1
	s_delay_alu instid0(VALU_DEP_1) | instskip(SKIP_1) | instid1(VALU_DEP_2)
	v_mul_f16_e32 v18, v11, v13
	v_mul_f16_e64 v13, v230, v13
	v_fma_f16 v18, v230, v1, -v18
	s_delay_alu instid0(VALU_DEP_2) | instskip(SKIP_2) | instid1(VALU_DEP_1)
	v_fmac_f16_e32 v13, v11, v1
	v_lshrrev_b32_e32 v1, 16, v0
	v_lshrrev_b32_e32 v11, 16, v19
	v_mul_f16_e32 v20, v1, v11
	v_mul_f16_e32 v11, v0, v11
	s_delay_alu instid0(VALU_DEP_2) | instskip(NEXT) | instid1(VALU_DEP_2)
	v_fma_f16 v0, v0, v19, -v20
	v_fmac_f16_e32 v11, v1, v19
	v_pack_b32_f16 v1, v12, v8
	s_delay_alu instid0(VALU_DEP_2)
	v_pack_b32_f16 v0, v0, v11
	ds_store_2addr_b32 v43, v1, v5 offset0:89 offset1:214
	v_pack_b32_f16 v1, v18, v13
	ds_store_2addr_b32 v40, v1, v0 offset0:53 offset1:178
	v_lshrrev_b32_e32 v1, 16, v14
	v_lshrrev_b32_e32 v0, 16, v233
	s_delay_alu instid0(VALU_DEP_2) | instskip(NEXT) | instid1(VALU_DEP_2)
	v_mul_f16_e64 v8, v233, v1
	v_mul_f16_e32 v5, v0, v1
	s_delay_alu instid0(VALU_DEP_2)
	v_fmac_f16_e32 v8, v0, v14
	ds_load_2addr_b32 v[0:1], v224 offset0:104 offset1:229
	v_fma_f16 v5, v233, v14, -v5
	s_wait_dscnt 0x0
	v_lshrrev_b32_e32 v11, 16, v0
	v_mul_f16_e32 v12, v0, v10
	s_delay_alu instid0(VALU_DEP_2) | instskip(NEXT) | instid1(VALU_DEP_2)
	v_mul_f16_e32 v10, v11, v10
	v_fmac_f16_e32 v12, v11, v15
	v_lshrrev_b32_e32 v11, 16, v3
	s_delay_alu instid0(VALU_DEP_3) | instskip(SKIP_1) | instid1(VALU_DEP_2)
	v_fma_f16 v0, v0, v15, -v10
	v_lshrrev_b32_e32 v10, 16, v1
	v_pack_b32_f16 v0, v0, v12
	s_delay_alu instid0(VALU_DEP_2) | instskip(SKIP_1) | instid1(VALU_DEP_2)
	v_mul_f16_e32 v13, v10, v11
	v_mul_f16_e32 v11, v1, v11
	v_fma_f16 v1, v1, v3, -v13
	s_delay_alu instid0(VALU_DEP_2) | instskip(SKIP_1) | instid1(VALU_DEP_2)
	v_fmac_f16_e32 v11, v10, v3
	v_pack_b32_f16 v3, v5, v8
	v_pack_b32_f16 v1, v1, v11
	ds_store_2addr_b32 v47, v3, v0 offset0:107 offset1:232
	v_pack_b32_f16 v0, v2, v6
	v_lshrrev_b32_e32 v3, 16, v9
	ds_store_2addr_b32 v41, v1, v0 offset0:101 offset1:226
	v_lshrrev_b32_e32 v0, 16, v4
	v_lshrrev_b32_e32 v1, 16, v17
	s_delay_alu instid0(VALU_DEP_1) | instskip(SKIP_1) | instid1(VALU_DEP_2)
	v_mul_f16_e32 v2, v0, v1
	v_mul_f16_e32 v1, v4, v1
	v_fma_f16 v2, v4, v17, -v2
	s_delay_alu instid0(VALU_DEP_2) | instskip(SKIP_1) | instid1(VALU_DEP_2)
	v_fmac_f16_e32 v1, v0, v17
	v_lshrrev_b32_e32 v0, 16, v7
	v_pack_b32_f16 v1, v2, v1
	s_delay_alu instid0(VALU_DEP_2) | instskip(SKIP_1) | instid1(VALU_DEP_2)
	v_mul_f16_e32 v4, v0, v3
	v_mul_f16_e32 v3, v7, v3
	v_fma_f16 v4, v7, v9, -v4
	s_delay_alu instid0(VALU_DEP_2)
	v_fmac_f16_e32 v3, v0, v9
	v_pack_b32_f16 v0, v21, v16
	ds_store_2addr_b32 v46, v1, v0 offset0:71 offset1:196
	v_pack_b32_f16 v0, v4, v3
	ds_store_b32 v165, v0 offset:14500
	global_wb scope:SCOPE_SE
	s_wait_dscnt 0x0
	s_barrier_signal -1
	s_barrier_wait -1
	global_inv scope:SCOPE_SE
	ds_load_2addr_b32 v[0:1], v156 offset0:122 offset1:247
	ds_load_2addr_b32 v[2:3], v62 offset0:92 offset1:217
	ds_load_2addr_b32 v[4:5], v250 offset0:62 offset1:187
	s_wait_dscnt 0x1
	v_pk_add_f16 v6, v0, v2
	s_wait_dscnt 0x0
	v_pk_add_f16 v7, v2, v4
	v_pk_add_f16 v8, v1, v3
	v_pk_add_f16 v9, v2, v4 neg_lo:[0,1] neg_hi:[0,1]
	v_pk_add_f16 v2, v3, v5
	v_pk_add_f16 v10, v3, v5 neg_lo:[0,1] neg_hi:[0,1]
	v_pk_add_f16 v11, v6, v4
	v_pk_add_f16 v8, v8, v5
	v_pk_fma_f16 v12, v7, 0.5, v0 op_sel_hi:[1,0,1] neg_lo:[1,0,0] neg_hi:[1,0,0]
	v_pk_fma_f16 v13, v2, 0.5, v1 op_sel_hi:[1,0,1] neg_lo:[1,0,0] neg_hi:[1,0,0]
	ds_load_2addr_b32 v[0:1], v144 offset0:116 offset1:241
	ds_load_2addr_b32 v[2:3], v101 offset0:86 offset1:211
	;; [unrolled: 1-line block ×3, first 2 shown]
	v_mov_b32_e32 v45, v130
	s_delay_alu instid0(VALU_DEP_1)
	v_mov_b32_e32 v58, v45
	s_wait_dscnt 0x1
	v_pk_add_f16 v6, v0, v2
	s_wait_dscnt 0x0
	v_pk_add_f16 v7, v2, v4
	v_pk_add_f16 v14, v1, v3
	v_pk_add_f16 v15, v2, v4 neg_lo:[0,1] neg_hi:[0,1]
	v_pk_add_f16 v2, v3, v5
	v_pk_add_f16 v16, v3, v5 neg_lo:[0,1] neg_hi:[0,1]
	v_pk_add_f16 v17, v6, v4
	v_pk_add_f16 v14, v14, v5
	v_pk_fma_f16 v18, v7, 0.5, v0 op_sel_hi:[1,0,1] neg_lo:[1,0,0] neg_hi:[1,0,0]
	v_pk_fma_f16 v19, v2, 0.5, v1 op_sel_hi:[1,0,1] neg_lo:[1,0,0] neg_hi:[1,0,0]
	ds_load_2addr_b32 v[0:1], v130 offset0:110 offset1:235
	ds_load_2addr_b32 v[2:3], v142 offset0:80 offset1:205
	;; [unrolled: 1-line block ×3, first 2 shown]
	s_wait_dscnt 0x1
	v_pk_add_f16 v6, v0, v2
	s_wait_dscnt 0x0
	v_pk_add_f16 v7, v2, v4
	v_pk_add_f16 v21, v2, v4 neg_lo:[0,1] neg_hi:[0,1]
	v_pk_add_f16 v2, v3, v5
	v_pk_add_f16 v20, v1, v3
	v_pk_add_f16 v22, v3, v5 neg_lo:[0,1] neg_hi:[0,1]
	v_pk_fma_f16 v32, v7, 0.5, v0 op_sel_hi:[1,0,1] neg_lo:[1,0,0] neg_hi:[1,0,0]
	v_pk_add_f16 v23, v6, v4
	v_pk_fma_f16 v33, v2, 0.5, v1 op_sel_hi:[1,0,1] neg_lo:[1,0,0] neg_hi:[1,0,0]
	ds_load_2addr_b32 v[0:1], v224 offset0:104 offset1:229
	ds_load_2addr_b32 v[2:3], v185 offset0:74 offset1:199
	v_pk_add_f16 v20, v20, v5
	ds_load_2addr_b32 v[4:5], v154 offset0:44 offset1:169
	s_wait_dscnt 0x1
	v_pk_add_f16 v6, v0, v2
	v_pk_add_f16 v7, v1, v3
	s_wait_dscnt 0x0
	v_pk_add_f16 v34, v2, v4
	v_pk_add_f16 v35, v2, v4 neg_lo:[0,1] neg_hi:[0,1]
	v_pk_add_f16 v36, v3, v5
	v_pk_add_f16 v37, v3, v5 neg_lo:[0,1] neg_hi:[0,1]
	v_pk_add_f16 v38, v6, v4
	v_pk_add_f16 v39, v7, v5
	ds_load_2addr_b32 v[2:3], v165 offset1:125
	ds_load_2addr_b32 v[4:5], v174 offset0:98 offset1:223
	ds_load_2addr_b32 v[6:7], v243 offset0:68 offset1:193
	global_wb scope:SCOPE_SE
	s_wait_dscnt 0x0
	s_barrier_signal -1
	s_barrier_wait -1
	global_inv scope:SCOPE_SE
	v_pk_fma_f16 v0, v34, 0.5, v0 op_sel_hi:[1,0,1] neg_lo:[1,0,0] neg_hi:[1,0,0]
	v_pk_add_f16 v42, v2, v4
	v_pk_add_f16 v43, v4, v6
	v_pk_add_f16 v4, v4, v6 neg_lo:[0,1] neg_hi:[0,1]
	v_pk_add_f16 v40, v3, v5
	v_pk_add_f16 v41, v5, v7
	v_pk_add_f16 v5, v5, v7 neg_lo:[0,1] neg_hi:[0,1]
	v_pk_fma_f16 v2, v43, 0.5, v2 op_sel_hi:[1,0,1] neg_lo:[1,0,0] neg_hi:[1,0,0]
	v_pk_mul_f16 v4, 0x3aee, v4 op_sel_hi:[0,1]
	v_pk_add_f16 v7, v40, v7
	v_pk_add_f16 v6, v42, v6
	v_pk_fma_f16 v3, v41, 0.5, v3 op_sel_hi:[1,0,1] neg_lo:[1,0,0] neg_hi:[1,0,0]
	s_delay_alu instid0(VALU_DEP_4) | instskip(SKIP_1) | instid1(VALU_DEP_1)
	v_pk_add_f16 v40, v2, v4 op_sel:[0,1] op_sel_hi:[1,0] neg_lo:[0,1] neg_hi:[0,1]
	v_pk_add_f16 v2, v2, v4 op_sel:[0,1] op_sel_hi:[1,0]
	v_bfi_b32 v4, 0xffff, v40, v2
	v_bfi_b32 v2, 0xffff, v2, v40
	scratch_load_b32 v40, off, off offset:248 th:TH_LOAD_LU ; 4-byte Folded Reload
	s_wait_loadcnt 0x0
	ds_store_2addr_b32 v40, v6, v4 offset1:1
	ds_store_b32 v40, v2 offset:8
	v_pk_mul_f16 v2, 0x3aee, v5 op_sel_hi:[0,1]
	v_lshrrev_b32_e32 v6, 16, v246
	s_delay_alu instid0(VALU_DEP_2) | instskip(SKIP_1) | instid1(VALU_DEP_1)
	v_pk_add_f16 v4, v3, v2 op_sel:[0,1] op_sel_hi:[1,0] neg_lo:[0,1] neg_hi:[0,1]
	v_pk_add_f16 v2, v3, v2 op_sel:[0,1] op_sel_hi:[1,0]
	v_bfi_b32 v3, 0xffff, v4, v2
	v_bfi_b32 v2, 0xffff, v2, v4
	scratch_load_b32 v4, off, off offset:256 th:TH_LOAD_LU ; 4-byte Folded Reload
	s_wait_loadcnt 0x0
	ds_store_2addr_b32 v4, v7, v3 offset1:1
	ds_store_b32 v4, v2 offset:8
	v_pk_mul_f16 v2, 0x3aee, v9 op_sel_hi:[0,1]
	s_delay_alu instid0(VALU_DEP_1) | instskip(SKIP_1) | instid1(VALU_DEP_1)
	v_pk_add_f16 v3, v12, v2 op_sel:[0,1] op_sel_hi:[1,0] neg_lo:[0,1] neg_hi:[0,1]
	v_pk_add_f16 v2, v12, v2 op_sel:[0,1] op_sel_hi:[1,0]
	v_bfi_b32 v4, 0xffff, v3, v2
	v_bfi_b32 v2, 0xffff, v2, v3
	scratch_load_b32 v3, off, off offset:252 th:TH_LOAD_LU ; 4-byte Folded Reload
	s_wait_loadcnt 0x0
	ds_store_2addr_b32 v3, v11, v4 offset1:1
	ds_store_b32 v3, v2 offset:8
	v_pk_mul_f16 v2, 0x3aee, v10 op_sel_hi:[0,1]
	v_lshrrev_b32_e32 v10, 16, v248
	s_delay_alu instid0(VALU_DEP_2) | instskip(SKIP_1) | instid1(VALU_DEP_1)
	v_pk_add_f16 v3, v13, v2 op_sel:[0,1] op_sel_hi:[1,0] neg_lo:[0,1] neg_hi:[0,1]
	v_pk_add_f16 v2, v13, v2 op_sel:[0,1] op_sel_hi:[1,0]
	v_bfi_b32 v4, 0xffff, v3, v2
	v_bfi_b32 v2, 0xffff, v2, v3
	scratch_load_b32 v3, off, off offset:264 th:TH_LOAD_LU ; 4-byte Folded Reload
	s_wait_loadcnt 0x0
	ds_store_2addr_b32 v3, v8, v4 offset1:1
	ds_store_b32 v3, v2 offset:8
	v_pk_mul_f16 v2, 0x3aee, v15 op_sel_hi:[0,1]
	v_lshrrev_b32_e32 v8, 16, v247
	s_delay_alu instid0(VALU_DEP_2) | instskip(SKIP_1) | instid1(VALU_DEP_1)
	v_pk_add_f16 v3, v18, v2 op_sel:[0,1] op_sel_hi:[1,0] neg_lo:[0,1] neg_hi:[0,1]
	v_pk_add_f16 v2, v18, v2 op_sel:[0,1] op_sel_hi:[1,0]
	v_bfi_b32 v4, 0xffff, v3, v2
	v_bfi_b32 v2, 0xffff, v2, v3
	scratch_load_b32 v3, off, off offset:260 th:TH_LOAD_LU ; 4-byte Folded Reload
	s_wait_loadcnt 0x0
	ds_store_2addr_b32 v3, v17, v4 offset1:1
	ds_store_b32 v3, v2 offset:8
	v_pk_mul_f16 v2, 0x3aee, v16 op_sel_hi:[0,1]
	s_delay_alu instid0(VALU_DEP_1) | instskip(SKIP_1) | instid1(VALU_DEP_1)
	v_pk_add_f16 v3, v19, v2 op_sel:[0,1] op_sel_hi:[1,0] neg_lo:[0,1] neg_hi:[0,1]
	v_pk_add_f16 v2, v19, v2 op_sel:[0,1] op_sel_hi:[1,0]
	v_bfi_b32 v4, 0xffff, v3, v2
	v_bfi_b32 v2, 0xffff, v2, v3
	scratch_load_b32 v3, off, off offset:272 th:TH_LOAD_LU ; 4-byte Folded Reload
	s_wait_loadcnt 0x0
	ds_store_2addr_b32 v3, v14, v4 offset1:1
	ds_store_b32 v3, v2 offset:8
	v_pk_mul_f16 v2, 0x3aee, v21 op_sel_hi:[0,1]
	s_delay_alu instid0(VALU_DEP_1) | instskip(SKIP_1) | instid1(VALU_DEP_1)
	;; [unrolled: 10-line block ×3, first 2 shown]
	v_pk_add_f16 v3, v33, v2 op_sel:[0,1] op_sel_hi:[1,0] neg_lo:[0,1] neg_hi:[0,1]
	v_pk_add_f16 v2, v33, v2 op_sel:[0,1] op_sel_hi:[1,0]
	v_bfi_b32 v4, 0xffff, v3, v2
	v_bfi_b32 v2, 0xffff, v2, v3
	scratch_load_b32 v3, off, off offset:280 th:TH_LOAD_LU ; 4-byte Folded Reload
	s_wait_loadcnt 0x0
	ds_store_2addr_b32 v3, v20, v4 offset1:1
	ds_store_b32 v3, v2 offset:8
	v_pk_mul_f16 v2, 0x3aee, v35 op_sel_hi:[0,1]
	v_lshrrev_b32_e32 v4, 16, v245
	s_delay_alu instid0(VALU_DEP_2) | instskip(SKIP_1) | instid1(VALU_DEP_1)
	v_pk_add_f16 v3, v0, v2 op_sel:[0,1] op_sel_hi:[1,0] neg_lo:[0,1] neg_hi:[0,1]
	v_pk_add_f16 v0, v0, v2 op_sel:[0,1] op_sel_hi:[1,0]
	v_bfi_b32 v2, 0xffff, v3, v0
	v_bfi_b32 v0, 0xffff, v0, v3
	scratch_load_b32 v3, off, off offset:284 th:TH_LOAD_LU ; 4-byte Folded Reload
	s_wait_loadcnt 0x0
	ds_store_2addr_b32 v3, v38, v2 offset1:1
	ds_store_b32 v3, v0 offset:8
	v_pk_fma_f16 v0, v36, 0.5, v1 op_sel_hi:[1,0,1] neg_lo:[1,0,0] neg_hi:[1,0,0]
	v_pk_mul_f16 v1, 0x3aee, v37 op_sel_hi:[0,1]
	s_delay_alu instid0(VALU_DEP_1) | instskip(SKIP_1) | instid1(VALU_DEP_1)
	v_pk_add_f16 v2, v0, v1 op_sel:[0,1] op_sel_hi:[1,0] neg_lo:[0,1] neg_hi:[0,1]
	v_pk_add_f16 v0, v0, v1 op_sel:[0,1] op_sel_hi:[1,0]
	v_bfi_b32 v1, 0xffff, v2, v0
	v_bfi_b32 v0, 0xffff, v0, v2
	scratch_load_b32 v2, off, off offset:276 th:TH_LOAD_LU ; 4-byte Folded Reload
	s_wait_loadcnt 0x0
	ds_store_2addr_b32 v2, v39, v1 offset1:1
	ds_store_b32 v2, v0 offset:8
	global_wb scope:SCOPE_SE
	s_wait_dscnt 0x0
	s_barrier_signal -1
	s_barrier_wait -1
	global_inv scope:SCOPE_SE
	ds_load_2addr_b32 v[0:1], v130 offset0:110 offset1:235
	v_mov_b32_e32 v130, v44
	s_wait_dscnt 0x0
	v_lshrrev_b32_e32 v2, 16, v0
	v_mul_f16_e32 v3, v4, v0
	s_delay_alu instid0(VALU_DEP_2) | instskip(NEXT) | instid1(VALU_DEP_2)
	v_mul_f16_e64 v230, v4, v2
	v_fma_f16 v229, v245, v2, -v3
	ds_load_2addr_b32 v[2:3], v62 offset0:92 offset1:217
	v_fmac_f16_e64 v230, v245, v0
	v_lshrrev_b32_e32 v0, 16, v1
	v_mov_b32_e32 v245, v101
	s_wait_dscnt 0x0
	v_lshrrev_b32_e32 v4, 16, v2
	v_mul_f16_e32 v5, v6, v2
	s_delay_alu instid0(VALU_DEP_2) | instskip(NEXT) | instid1(VALU_DEP_2)
	v_mul_f16_e64 v158, v6, v4
	v_fma_f16 v231, v246, v4, -v5
	ds_load_2addr_b32 v[4:5], v185 offset0:74 offset1:199
	v_fmac_f16_e64 v158, v246, v2
	v_lshrrev_b32_e32 v2, 16, v204
	s_delay_alu instid0(VALU_DEP_1) | instskip(NEXT) | instid1(VALU_DEP_1)
	v_mul_f16_e64 v242, v2, v0
	v_fmac_f16_e64 v242, v204, v1
	v_mul_f16_e32 v1, v2, v1
	v_lshrrev_b32_e32 v2, 16, v3
	s_wait_dscnt 0x0
	v_lshrrev_b32_e32 v6, 16, v4
	v_mul_f16_e32 v7, v8, v4
	v_fma_f16 v141, v204, v0, -v1
	ds_load_2addr_b32 v[0:1], v224 offset0:104 offset1:229
	v_mul_f16_e64 v233, v8, v6
	v_fma_f16 v232, v247, v6, -v7
	ds_load_2addr_b32 v[6:7], v44 offset0:56 offset1:181
	v_fmac_f16_e64 v233, v247, v4
	v_lshrrev_b32_e32 v4, 16, v205
	v_sub_f16_e64 v36, v231, v232
	s_delay_alu instid0(VALU_DEP_3) | instskip(NEXT) | instid1(VALU_DEP_3)
	v_sub_f16_e64 v39, v158, v233
	v_mul_f16_e64 v203, v4, v2
	s_delay_alu instid0(VALU_DEP_1)
	v_fmac_f16_e64 v203, v205, v3
	v_mul_f16_e32 v3, v4, v3
	v_lshrrev_b32_e32 v4, 16, v5
	s_wait_dscnt 0x0
	v_lshrrev_b32_e32 v8, 16, v6
	v_mul_f16_e32 v9, v10, v6
	v_fma_f16 v157, v205, v2, -v3
	v_lshrrev_b32_e32 v2, 16, v0
	s_delay_alu instid0(VALU_DEP_4) | instskip(NEXT) | instid1(VALU_DEP_4)
	v_mul_f16_e64 v159, v10, v8
	v_fma_f16 v145, v248, v8, -v9
	v_lshrrev_b32_e32 v8, 16, v207
	v_lshrrev_b32_e32 v10, 16, v105
	s_delay_alu instid0(VALU_DEP_4) | instskip(SKIP_3) | instid1(VALU_DEP_4)
	v_fmac_f16_e64 v159, v248, v6
	v_lshrrev_b32_e32 v6, 16, v206
	v_sub_f16_e64 v35, v229, v145
	v_sub_f16_e64 v42, v232, v145
	;; [unrolled: 1-line block ×3, first 2 shown]
	s_delay_alu instid0(VALU_DEP_4) | instskip(SKIP_1) | instid1(VALU_DEP_2)
	v_mul_f16_e32 v127, v6, v4
	v_add_f16_e64 v41, v230, v159
	v_fmac_f16_e64 v127, v206, v5
	v_mul_f16_e32 v5, v6, v5
	v_lshrrev_b32_e32 v6, 16, v7
	s_delay_alu instid0(VALU_DEP_2) | instskip(SKIP_1) | instid1(VALU_DEP_3)
	v_fma_f16 v218, v206, v4, -v5
	v_lshrrev_b32_e32 v4, 16, v102
	v_mul_f16_e64 v128, v8, v6
	v_mul_f16_e32 v8, v8, v7
	s_delay_alu instid0(VALU_DEP_3) | instskip(SKIP_1) | instid1(VALU_DEP_3)
	v_mul_f16_e32 v3, v4, v0
	v_mul_f16_e64 v200, v4, v2
	v_fma_f16 v228, v207, v6, -v8
	v_lshrrev_b32_e32 v6, 16, v103
	v_lshrrev_b32_e32 v8, 16, v104
	v_fma_f16 v194, v102, v2, -v3
	ds_load_2addr_b32 v[2:3], v101 offset0:86 offset1:211
	v_fmac_f16_e64 v128, v207, v7
	v_fmac_f16_e64 v200, v102, v0
	v_lshrrev_b32_e32 v0, 16, v1
	v_sub_f16_e64 v43, v218, v228
	s_wait_dscnt 0x0
	v_lshrrev_b32_e32 v4, 16, v2
	v_mul_f16_e32 v5, v6, v2
	s_delay_alu instid0(VALU_DEP_2) | instskip(NEXT) | instid1(VALU_DEP_2)
	v_mul_f16_e64 v205, v6, v4
	v_fma_f16 v204, v103, v4, -v5
	ds_load_2addr_b32 v[4:5], v243 offset0:68 offset1:193
	v_fmac_f16_e64 v205, v103, v2
	v_lshrrev_b32_e32 v2, 16, v136
	s_delay_alu instid0(VALU_DEP_1) | instskip(NEXT) | instid1(VALU_DEP_1)
	v_mul_f16_e32 v97, v2, v0
	v_fmac_f16_e64 v97, v136, v1
	v_mul_f16_e32 v1, v2, v1
	v_lshrrev_b32_e32 v2, 16, v3
	s_wait_dscnt 0x0
	v_lshrrev_b32_e32 v6, 16, v4
	v_mul_f16_e32 v7, v8, v4
	v_fma_f16 v116, v136, v0, -v1
	ds_load_2addr_b32 v[0:1], v174 offset0:98 offset1:223
	v_mul_f16_e64 v207, v8, v6
	v_fma_f16 v206, v104, v6, -v7
	ds_load_2addr_b32 v[6:7], v100 offset0:50 offset1:175
	v_fmac_f16_e64 v207, v104, v4
	v_lshrrev_b32_e32 v4, 16, v137
	s_delay_alu instid0(VALU_DEP_1) | instskip(NEXT) | instid1(VALU_DEP_1)
	v_mul_f16_e32 v98, v4, v2
	v_fmac_f16_e64 v98, v137, v3
	v_mul_f16_e32 v3, v4, v3
	v_lshrrev_b32_e32 v4, 16, v5
	s_wait_dscnt 0x0
	v_lshrrev_b32_e32 v8, 16, v6
	v_mul_f16_e32 v9, v10, v6
	v_fma_f16 v155, v137, v2, -v3
	v_lshrrev_b32_e32 v2, 16, v0
	s_delay_alu instid0(VALU_DEP_4) | instskip(NEXT) | instid1(VALU_DEP_4)
	v_mul_f16_e64 v217, v10, v8
	v_fma_f16 v213, v105, v8, -v9
	v_lshrrev_b32_e32 v8, 16, v139
	v_lshrrev_b32_e32 v10, 16, v153
	s_delay_alu instid0(VALU_DEP_4) | instskip(SKIP_1) | instid1(VALU_DEP_1)
	v_fmac_f16_e64 v217, v105, v6
	v_lshrrev_b32_e32 v6, 16, v138
	v_mul_f16_e32 v102, v6, v4
	s_delay_alu instid0(VALU_DEP_1) | instskip(SKIP_2) | instid1(VALU_DEP_2)
	v_fmac_f16_e64 v102, v138, v5
	v_mul_f16_e32 v5, v6, v5
	v_lshrrev_b32_e32 v6, 16, v7
	v_fma_f16 v140, v138, v4, -v5
	v_lshrrev_b32_e32 v4, 16, v150
	s_delay_alu instid0(VALU_DEP_3) | instskip(SKIP_1) | instid1(VALU_DEP_3)
	v_mul_f16_e32 v112, v8, v6
	v_mul_f16_e32 v8, v8, v7
	;; [unrolled: 1-line block ×4, first 2 shown]
	s_delay_alu instid0(VALU_DEP_3)
	v_fma_f16 v186, v139, v6, -v8
	v_lshrrev_b32_e32 v6, 16, v151
	v_lshrrev_b32_e32 v8, 16, v152
	v_fma_f16 v16, v150, v2, -v3
	ds_load_2addr_b32 v[3:4], v142 offset0:80 offset1:205
	v_fmac_f16_e64 v112, v139, v7
	v_fmac_f16_e64 v17, v150, v0
	v_lshrrev_b32_e32 v0, 16, v1
	s_wait_dscnt 0x0
	v_lshrrev_b32_e32 v2, 16, v3
	v_mul_f16_e32 v5, v6, v3
	s_delay_alu instid0(VALU_DEP_2) | instskip(NEXT) | instid1(VALU_DEP_2)
	v_mul_f16_e32 v19, v6, v2
	v_fma_f16 v18, v151, v2, -v5
	ds_load_2addr_b32 v[5:6], v250 offset0:62 offset1:187
	v_fmac_f16_e64 v19, v151, v3
	v_lshrrev_b32_e32 v3, 16, v252
	s_wait_dscnt 0x0
	v_lshrrev_b32_e32 v2, 16, v5
	v_mul_f16_e32 v7, v8, v5
	s_delay_alu instid0(VALU_DEP_2) | instskip(NEXT) | instid1(VALU_DEP_2)
	v_mul_f16_e32 v21, v8, v2
	v_fma_f16 v20, v152, v2, -v7
	ds_load_2addr_b32 v[7:8], v154 offset0:44 offset1:169
	v_fmac_f16_e64 v21, v152, v5
	v_lshrrev_b32_e32 v5, 16, v253
	s_wait_dscnt 0x0
	v_lshrrev_b32_e32 v2, 16, v7
	v_mul_f16_e32 v9, v10, v7
	v_lshrrev_b32_e32 v12, 16, v8
	s_delay_alu instid0(VALU_DEP_3) | instskip(NEXT) | instid1(VALU_DEP_3)
	v_mul_f16_e32 v23, v10, v2
	v_fma_f16 v22, v153, v2, -v9
	v_mul_f16_e32 v2, v3, v0
	v_mul_f16_e32 v9, v5, v4
	v_lshrrev_b32_e32 v10, 16, v6
	v_fmac_f16_e64 v23, v153, v7
	v_lshrrev_b32_e32 v7, 16, v4
	v_fmac_f16_e64 v2, v252, v1
	v_mul_f16_e32 v1, v3, v1
	s_delay_alu instid0(VALU_DEP_3) | instskip(SKIP_1) | instid1(VALU_DEP_2)
	v_mul_f16_e32 v3, v5, v7
	v_lshrrev_b32_e32 v5, 16, v254
	v_fmac_f16_e64 v3, v253, v4
	s_delay_alu instid0(VALU_DEP_2) | instskip(SKIP_1) | instid1(VALU_DEP_2)
	v_mul_f16_e32 v4, v5, v10
	v_mul_f16_e32 v11, v5, v6
	v_fmac_f16_e64 v4, v254, v6
	v_lshrrev_b32_e32 v6, 16, v255
	s_delay_alu instid0(VALU_DEP_1)
	v_mul_f16_e32 v5, v6, v12
	v_mul_f16_e32 v13, v6, v8
	v_fma_f16 v6, v252, v0, -v1
	v_sub_f16_e64 v0, v230, v158
	v_sub_f16_e64 v1, v159, v233
	v_fmac_f16_e64 v5, v255, v8
	v_fma_f16 v8, v253, v7, -v9
	v_fma_f16 v7, v254, v10, -v11
	;; [unrolled: 1-line block ×3, first 2 shown]
	v_add_f16_e32 v10, v0, v1
	v_sub_f16_e64 v0, v229, v231
	v_sub_f16_e64 v1, v145, v232
	s_delay_alu instid0(VALU_DEP_1) | instskip(SKIP_4) | instid1(VALU_DEP_2)
	v_add_f16_e32 v15, v0, v1
	ds_load_2addr_b32 v[0:1], v165 offset1:125
	s_wait_dscnt 0x0
	v_lshrrev_b32_e32 v32, 16, v0
	v_add_f16_e64 v11, v0, v230
	v_add_f16_e64 v12, v32, v229
	s_delay_alu instid0(VALU_DEP_2) | instskip(NEXT) | instid1(VALU_DEP_2)
	v_add_f16_e64 v11, v11, v158
	v_add_f16_e64 v12, v12, v231
	s_delay_alu instid0(VALU_DEP_2) | instskip(NEXT) | instid1(VALU_DEP_2)
	;; [unrolled: 3-line block ×3, first 2 shown]
	v_add_f16_e64 v11, v11, v159
	v_add_f16_e64 v12, v12, v145
	s_delay_alu instid0(VALU_DEP_1) | instskip(SKIP_2) | instid1(VALU_DEP_2)
	v_pack_b32_f16 v33, v11, v12
	v_add_f16_e64 v11, v158, v233
	v_add_f16_e64 v12, v231, v232
	v_fma_f16 v34, -0.5, v11, v0
	s_delay_alu instid0(VALU_DEP_2) | instskip(SKIP_1) | instid1(VALU_DEP_3)
	v_fma_f16 v37, -0.5, v12, v32
	v_fma_f16 v0, -0.5, v41, v0
	v_fmamk_f16 v11, v35, 0xbb9c, v34
	s_delay_alu instid0(VALU_DEP_3) | instskip(NEXT) | instid1(VALU_DEP_3)
	v_fmamk_f16 v12, v38, 0x3b9c, v37
	v_fmamk_f16 v41, v36, 0x3b9c, v0
	v_fmac_f16_e32 v0, 0xbb9c, v36
	v_fmac_f16_e32 v34, 0x3b9c, v35
	;; [unrolled: 1-line block ×10, first 2 shown]
	v_sub_f16_e64 v36, v157, v218
	v_fmac_f16_e32 v37, 0xb8b4, v39
	s_delay_alu instid0(VALU_DEP_4)
	v_pack_b32_f16 v40, v11, v12
	ds_load_2addr_b32 v[11:12], v156 offset0:122 offset1:247
	ds_load_2addr_b32 v[13:14], v144 offset0:116 offset1:241
	global_wb scope:SCOPE_SE
	s_wait_dscnt 0x0
	s_barrier_signal -1
	s_barrier_wait -1
	global_inv scope:SCOPE_SE
	ds_store_2addr_b32 v190, v33, v40 offset1:3
	v_sub_f16_e64 v33, v158, v230
	v_sub_f16_e64 v40, v233, v159
	v_fmac_f16_e32 v34, 0x34f2, v10
	v_fmac_f16_e32 v37, 0x34f2, v15
	v_sub_f16_e64 v10, v128, v127
	v_sub_f16_e64 v15, v228, v218
	v_add_f16_e32 v33, v33, v40
	v_add_f16_e64 v40, v229, v145
	s_delay_alu instid0(VALU_DEP_2) | instskip(NEXT) | instid1(VALU_DEP_2)
	v_fmac_f16_e32 v41, 0x34f2, v33
	v_fmac_f16_e32 v32, -0.5, v40
	v_sub_f16_e64 v40, v231, v229
	v_fmac_f16_e32 v0, 0x34f2, v33
	s_delay_alu instid0(VALU_DEP_2) | instskip(NEXT) | instid1(VALU_DEP_4)
	v_add_f16_e32 v33, v40, v42
	v_fmamk_f16 v40, v39, 0xbb9c, v32
	v_fmac_f16_e32 v32, 0x3b9c, v39
	v_add_f16_e64 v42, v141, v228
	s_delay_alu instid0(VALU_DEP_3) | instskip(NEXT) | instid1(VALU_DEP_3)
	v_fmac_f16_e32 v40, 0x38b4, v38
	v_fmac_f16_e32 v32, 0xb8b4, v38
	v_sub_f16_e64 v38, v242, v128
	s_delay_alu instid0(VALU_DEP_3) | instskip(NEXT) | instid1(VALU_DEP_3)
	v_fmac_f16_e32 v40, 0x34f2, v33
	v_fmac_f16_e32 v32, 0x34f2, v33
	s_delay_alu instid0(VALU_DEP_2) | instskip(NEXT) | instid1(VALU_DEP_2)
	v_pack_b32_f16 v33, v41, v40
	v_pack_b32_f16 v0, v0, v32
	v_lshrrev_b32_e32 v32, 16, v1
	v_sub_f16_e64 v40, v203, v127
	v_sub_f16_e64 v41, v157, v141
	ds_store_2addr_b32 v190, v33, v0 offset0:6 offset1:9
	v_pack_b32_f16 v0, v34, v37
	v_add_f16_e64 v33, v32, v141
	v_add_f16_e64 v37, v157, v218
	v_sub_f16_e64 v34, v141, v228
	ds_store_b32 v190, v0 offset:48
	v_sub_f16_e64 v0, v242, v203
	v_add_f16_e64 v33, v33, v157
	v_fma_f16 v37, -0.5, v37, v32
	v_fmac_f16_e32 v32, -0.5, v42
	s_delay_alu instid0(VALU_DEP_4) | instskip(SKIP_4) | instid1(VALU_DEP_4)
	v_add_f16_e32 v0, v0, v10
	v_sub_f16_e64 v10, v141, v157
	v_add_f16_e64 v33, v33, v218
	v_fmamk_f16 v39, v38, 0x3b9c, v37
	v_fmac_f16_e32 v37, 0xbb9c, v38
	v_add_f16_e32 v10, v10, v15
	v_add_f16_e64 v15, v1, v242
	v_add_f16_e64 v33, v33, v228
	v_fmac_f16_e32 v39, 0x38b4, v40
	v_fmac_f16_e32 v37, 0xb8b4, v40
	s_delay_alu instid0(VALU_DEP_4) | instskip(NEXT) | instid1(VALU_DEP_3)
	v_add_f16_e64 v15, v15, v203
	v_fmac_f16_e32 v39, 0x34f2, v10
	s_delay_alu instid0(VALU_DEP_3) | instskip(SKIP_1) | instid1(VALU_DEP_4)
	v_fmac_f16_e32 v37, 0x34f2, v10
	v_sub_f16_e64 v10, v213, v206
	v_add_f16_e32 v15, v15, v127
	s_delay_alu instid0(VALU_DEP_1) | instskip(NEXT) | instid1(VALU_DEP_1)
	v_add_f16_e64 v15, v15, v128
	v_pack_b32_f16 v15, v15, v33
	v_add_f16_e64 v33, v203, v127
	s_delay_alu instid0(VALU_DEP_1) | instskip(NEXT) | instid1(VALU_DEP_1)
	v_fma_f16 v33, -0.5, v33, v1
	v_fmamk_f16 v35, v34, 0xbb9c, v33
	v_fmac_f16_e32 v33, 0x3b9c, v34
	s_delay_alu instid0(VALU_DEP_2) | instskip(NEXT) | instid1(VALU_DEP_2)
	v_fmac_f16_e32 v35, 0xb8b4, v36
	v_fmac_f16_e32 v33, 0x38b4, v36
	s_delay_alu instid0(VALU_DEP_2) | instskip(NEXT) | instid1(VALU_DEP_2)
	v_fmac_f16_e32 v35, 0x34f2, v0
	v_fmac_f16_e32 v33, 0x34f2, v0
	s_delay_alu instid0(VALU_DEP_2) | instskip(SKIP_1) | instid1(VALU_DEP_3)
	v_pack_b32_f16 v35, v35, v39
	v_sub_f16_e64 v39, v127, v128
	v_pack_b32_f16 v0, v33, v37
	v_sub_f16_e64 v33, v194, v213
	v_sub_f16_e64 v37, v200, v217
	ds_store_2addr_b32 v143, v15, v35 offset1:3
	v_add_f16_e64 v35, v242, v128
	v_sub_f16_e64 v15, v203, v242
	ds_store_b32 v143, v0 offset:48
	v_sub_f16_e64 v0, v200, v205
	v_fmac_f16_e32 v1, -0.5, v35
	v_add_f16_e32 v15, v15, v39
	v_add_f16_e32 v35, v41, v43
	v_fmamk_f16 v41, v40, 0xbb9c, v32
	v_fmac_f16_e32 v32, 0x3b9c, v40
	v_fmamk_f16 v39, v36, 0x3b9c, v1
	v_fmac_f16_e32 v1, 0xbb9c, v36
	v_add_f16_e64 v36, v204, v206
	v_fmac_f16_e32 v41, 0x38b4, v38
	v_fmac_f16_e32 v32, 0xb8b4, v38
	;; [unrolled: 1-line block ×4, first 2 shown]
	v_sub_f16_e64 v40, v206, v213
	v_fmac_f16_e32 v41, 0x34f2, v35
	v_fmac_f16_e32 v32, 0x34f2, v35
	;; [unrolled: 1-line block ×4, first 2 shown]
	v_sub_f16_e64 v35, v204, v206
	s_delay_alu instid0(VALU_DEP_3) | instskip(NEXT) | instid1(VALU_DEP_3)
	v_pack_b32_f16 v15, v39, v41
	v_pack_b32_f16 v1, v1, v32
	v_sub_f16_e64 v39, v205, v207
	v_sub_f16_e64 v41, v140, v186
	ds_store_2addr_b32 v143, v15, v1 offset0:6 offset1:9
	v_sub_f16_e64 v1, v217, v207
	v_lshrrev_b32_e32 v15, 16, v11
	s_delay_alu instid0(VALU_DEP_2) | instskip(SKIP_1) | instid1(VALU_DEP_3)
	v_add_f16_e32 v0, v0, v1
	v_sub_f16_e64 v1, v194, v204
	v_add_f16_e64 v32, v15, v194
	v_fma_f16 v36, -0.5, v36, v15
	s_delay_alu instid0(VALU_DEP_3) | instskip(SKIP_1) | instid1(VALU_DEP_4)
	v_add_f16_e32 v1, v1, v10
	v_add_f16_e64 v10, v11, v200
	v_add_f16_e64 v32, v32, v204
	s_delay_alu instid0(VALU_DEP_4) | instskip(SKIP_1) | instid1(VALU_DEP_4)
	v_fmamk_f16 v38, v37, 0x3b9c, v36
	v_fmac_f16_e32 v36, 0xbb9c, v37
	v_add_f16_e64 v10, v10, v205
	s_delay_alu instid0(VALU_DEP_4) | instskip(NEXT) | instid1(VALU_DEP_4)
	v_add_f16_e64 v32, v32, v206
	v_fmac_f16_e32 v38, 0x38b4, v39
	s_delay_alu instid0(VALU_DEP_4) | instskip(NEXT) | instid1(VALU_DEP_4)
	v_fmac_f16_e32 v36, 0xb8b4, v39
	v_add_f16_e64 v10, v10, v207
	s_delay_alu instid0(VALU_DEP_4) | instskip(NEXT) | instid1(VALU_DEP_4)
	v_add_f16_e64 v32, v32, v213
	v_fmac_f16_e32 v38, 0x34f2, v1
	s_delay_alu instid0(VALU_DEP_4) | instskip(SKIP_2) | instid1(VALU_DEP_1)
	v_fmac_f16_e32 v36, 0x34f2, v1
	v_sub_f16_e32 v1, v112, v102
	v_add_f16_e64 v10, v10, v217
	v_pack_b32_f16 v10, v10, v32
	v_add_f16_e64 v32, v205, v207
	s_delay_alu instid0(VALU_DEP_1) | instskip(NEXT) | instid1(VALU_DEP_1)
	v_fma_f16 v32, -0.5, v32, v11
	v_fmamk_f16 v34, v33, 0xbb9c, v32
	v_fmac_f16_e32 v32, 0x3b9c, v33
	s_delay_alu instid0(VALU_DEP_2) | instskip(NEXT) | instid1(VALU_DEP_2)
	v_fmac_f16_e32 v34, 0xb8b4, v35
	v_fmac_f16_e32 v32, 0x38b4, v35
	s_delay_alu instid0(VALU_DEP_2) | instskip(NEXT) | instid1(VALU_DEP_2)
	v_fmac_f16_e32 v34, 0x34f2, v0
	v_fmac_f16_e32 v32, 0x34f2, v0
	s_delay_alu instid0(VALU_DEP_2) | instskip(SKIP_1) | instid1(VALU_DEP_3)
	v_pack_b32_f16 v34, v34, v38
	v_add_f16_e64 v38, v200, v217
	v_pack_b32_f16 v0, v32, v36
	v_sub_f16_e64 v32, v116, v186
	v_sub_f16_e32 v36, v97, v112
	ds_store_2addr_b32 v129, v10, v34 offset1:3
	v_sub_f16_e64 v10, v205, v200
	v_sub_f16_e64 v34, v207, v217
	v_fma_f16 v11, -0.5, v38, v11
	ds_store_b32 v129, v0 offset:48
	v_sub_f16_e32 v0, v97, v98
	v_add_f16_e32 v10, v10, v34
	v_add_f16_e64 v34, v194, v213
	v_fmamk_f16 v38, v35, 0x3b9c, v11
	v_fmac_f16_e32 v11, 0xbb9c, v35
	v_add_f16_e32 v0, v0, v1
	v_sub_f16_e64 v1, v116, v155
	v_fmac_f16_e32 v15, -0.5, v34
	v_sub_f16_e64 v34, v204, v194
	v_fmac_f16_e32 v38, 0xb8b4, v33
	v_fmac_f16_e32 v11, 0x38b4, v33
	v_add_f16_e64 v35, v155, v140
	s_delay_alu instid0(VALU_DEP_3) | instskip(NEXT) | instid1(VALU_DEP_3)
	v_fmac_f16_e32 v38, 0x34f2, v10
	v_fmac_f16_e32 v11, 0x34f2, v10
	v_add_f16_e32 v10, v34, v40
	v_fmamk_f16 v34, v39, 0xbb9c, v15
	v_fmac_f16_e32 v15, 0x3b9c, v39
	v_add_f16_e64 v40, v116, v186
	v_sub_f16_e64 v39, v155, v116
	s_delay_alu instid0(VALU_DEP_4) | instskip(NEXT) | instid1(VALU_DEP_4)
	v_fmac_f16_e32 v34, 0x38b4, v37
	v_fmac_f16_e32 v15, 0xb8b4, v37
	s_delay_alu instid0(VALU_DEP_2) | instskip(NEXT) | instid1(VALU_DEP_2)
	v_fmac_f16_e32 v34, 0x34f2, v10
	v_fmac_f16_e32 v15, 0x34f2, v10
	s_delay_alu instid0(VALU_DEP_2) | instskip(NEXT) | instid1(VALU_DEP_2)
	v_pack_b32_f16 v10, v38, v34
	v_pack_b32_f16 v11, v11, v15
	v_sub_f16_e64 v34, v155, v140
	v_sub_f16_e32 v38, v98, v102
	ds_store_2addr_b32 v129, v10, v11 offset0:6 offset1:9
	v_sub_f16_e64 v10, v186, v140
	v_lshrrev_b32_e32 v11, 16, v12
	s_delay_alu instid0(VALU_DEP_2) | instskip(SKIP_1) | instid1(VALU_DEP_3)
	v_add_f16_e32 v1, v1, v10
	v_add_f16_e32 v10, v12, v97
	;; [unrolled: 1-line block ×3, first 2 shown]
	v_fma_f16 v35, -0.5, v35, v11
	v_fmac_f16_e32 v11, -0.5, v40
	s_delay_alu instid0(VALU_DEP_4) | instskip(NEXT) | instid1(VALU_DEP_4)
	v_add_f16_e32 v10, v10, v98
	v_add_f16_e64 v15, v15, v155
	s_delay_alu instid0(VALU_DEP_4) | instskip(SKIP_1) | instid1(VALU_DEP_4)
	v_fmamk_f16 v37, v36, 0x3b9c, v35
	v_fmac_f16_e32 v35, 0xbb9c, v36
	v_add_f16_e32 v10, v10, v102
	s_delay_alu instid0(VALU_DEP_4) | instskip(NEXT) | instid1(VALU_DEP_4)
	v_add_f16_e64 v15, v15, v140
	v_fmac_f16_e32 v37, 0x38b4, v38
	s_delay_alu instid0(VALU_DEP_4) | instskip(NEXT) | instid1(VALU_DEP_4)
	v_fmac_f16_e32 v35, 0xb8b4, v38
	v_add_f16_e32 v10, v10, v112
	s_delay_alu instid0(VALU_DEP_4) | instskip(NEXT) | instid1(VALU_DEP_4)
	v_add_f16_e64 v15, v15, v186
	v_fmac_f16_e32 v37, 0x34f2, v1
	s_delay_alu instid0(VALU_DEP_4) | instskip(SKIP_1) | instid1(VALU_DEP_4)
	v_fmac_f16_e32 v35, 0x34f2, v1
	v_sub_f16_e32 v1, v23, v21
	v_pack_b32_f16 v10, v10, v15
	v_add_f16_e32 v15, v98, v102
	s_delay_alu instid0(VALU_DEP_1) | instskip(NEXT) | instid1(VALU_DEP_1)
	v_fma_f16 v15, -0.5, v15, v12
	v_fmamk_f16 v33, v32, 0xbb9c, v15
	v_fmac_f16_e32 v15, 0x3b9c, v32
	s_delay_alu instid0(VALU_DEP_2) | instskip(NEXT) | instid1(VALU_DEP_2)
	v_fmac_f16_e32 v33, 0xb8b4, v34
	v_fmac_f16_e32 v15, 0x38b4, v34
	s_delay_alu instid0(VALU_DEP_2) | instskip(NEXT) | instid1(VALU_DEP_2)
	v_fmac_f16_e32 v33, 0x34f2, v0
	v_fmac_f16_e32 v15, 0x34f2, v0
	s_delay_alu instid0(VALU_DEP_2) | instskip(SKIP_1) | instid1(VALU_DEP_3)
	v_pack_b32_f16 v33, v33, v37
	v_sub_f16_e32 v37, v102, v112
	v_pack_b32_f16 v0, v15, v35
	v_sub_f16_e32 v15, v16, v22
	v_sub_f16_e32 v35, v17, v23
	ds_store_2addr_b32 v114, v10, v33 offset1:3
	v_add_f16_e32 v33, v97, v112
	v_sub_f16_e32 v10, v98, v97
	ds_store_b32 v114, v0 offset:48
	v_sub_f16_e32 v0, v17, v19
	v_fmac_f16_e32 v12, -0.5, v33
	v_add_f16_e32 v10, v10, v37
	v_add_f16_e32 v33, v39, v41
	v_fmamk_f16 v39, v38, 0xbb9c, v11
	v_fmac_f16_e32 v11, 0x3b9c, v38
	v_fmamk_f16 v37, v34, 0x3b9c, v12
	v_fmac_f16_e32 v12, 0xbb9c, v34
	v_add_f16_e32 v0, v0, v1
	v_fmac_f16_e32 v39, 0x38b4, v36
	v_fmac_f16_e32 v11, 0xb8b4, v36
	;; [unrolled: 1-line block ×4, first 2 shown]
	v_sub_f16_e32 v1, v16, v18
	v_fmac_f16_e32 v39, 0x34f2, v33
	v_fmac_f16_e32 v11, 0x34f2, v33
	;; [unrolled: 1-line block ×4, first 2 shown]
	v_add_f16_e32 v34, v18, v20
	v_sub_f16_e32 v33, v18, v20
	s_delay_alu instid0(VALU_DEP_4) | instskip(NEXT) | instid1(VALU_DEP_4)
	v_pack_b32_f16 v10, v37, v39
	v_pack_b32_f16 v11, v12, v11
	v_sub_f16_e32 v37, v19, v21
	ds_store_2addr_b32 v114, v10, v11 offset0:6 offset1:9
	v_sub_f16_e32 v10, v22, v20
	v_lshrrev_b32_e32 v11, 16, v13
	s_delay_alu instid0(VALU_DEP_2) | instskip(SKIP_1) | instid1(VALU_DEP_3)
	v_add_f16_e32 v1, v1, v10
	v_add_f16_e32 v10, v13, v17
	;; [unrolled: 1-line block ×3, first 2 shown]
	v_fma_f16 v34, -0.5, v34, v11
	s_delay_alu instid0(VALU_DEP_3) | instskip(NEXT) | instid1(VALU_DEP_3)
	v_add_f16_e32 v10, v10, v19
	v_add_f16_e32 v12, v12, v18
	s_delay_alu instid0(VALU_DEP_3) | instskip(SKIP_1) | instid1(VALU_DEP_4)
	v_fmamk_f16 v36, v35, 0x3b9c, v34
	v_fmac_f16_e32 v34, 0xbb9c, v35
	v_add_f16_e32 v10, v10, v21
	s_delay_alu instid0(VALU_DEP_4) | instskip(NEXT) | instid1(VALU_DEP_4)
	v_add_f16_e32 v12, v12, v20
	v_fmac_f16_e32 v36, 0x38b4, v37
	s_delay_alu instid0(VALU_DEP_4) | instskip(NEXT) | instid1(VALU_DEP_4)
	v_fmac_f16_e32 v34, 0xb8b4, v37
	v_add_f16_e32 v10, v10, v23
	s_delay_alu instid0(VALU_DEP_4) | instskip(NEXT) | instid1(VALU_DEP_4)
	v_add_f16_e32 v12, v12, v22
	v_fmac_f16_e32 v36, 0x34f2, v1
	s_delay_alu instid0(VALU_DEP_4) | instskip(SKIP_1) | instid1(VALU_DEP_4)
	v_fmac_f16_e32 v34, 0x34f2, v1
	v_sub_f16_e32 v1, v5, v4
	v_pack_b32_f16 v10, v10, v12
	v_add_f16_e32 v12, v19, v21
	s_delay_alu instid0(VALU_DEP_1) | instskip(NEXT) | instid1(VALU_DEP_1)
	v_fma_f16 v12, -0.5, v12, v13
	v_fmamk_f16 v32, v15, 0xbb9c, v12
	v_fmac_f16_e32 v12, 0x3b9c, v15
	s_delay_alu instid0(VALU_DEP_2) | instskip(NEXT) | instid1(VALU_DEP_2)
	v_fmac_f16_e32 v32, 0xb8b4, v33
	v_fmac_f16_e32 v12, 0x38b4, v33
	s_delay_alu instid0(VALU_DEP_2) | instskip(NEXT) | instid1(VALU_DEP_2)
	v_fmac_f16_e32 v32, 0x34f2, v0
	v_fmac_f16_e32 v12, 0x34f2, v0
	s_delay_alu instid0(VALU_DEP_2) | instskip(NEXT) | instid1(VALU_DEP_2)
	v_pack_b32_f16 v32, v32, v36
	v_pack_b32_f16 v0, v12, v34
	ds_store_2addr_b32 v201, v10, v32 offset1:3
	v_sub_f16_e32 v10, v19, v17
	v_add_f16_e32 v17, v17, v23
	v_sub_f16_e32 v19, v21, v23
	ds_store_b32 v201, v0 offset:48
	v_sub_f16_e32 v0, v2, v3
	v_fma_f16 v13, -0.5, v17, v13
	v_add_f16_e32 v10, v10, v19
	v_add_f16_e32 v19, v16, v22
	v_sub_f16_e32 v16, v18, v16
	v_sub_f16_e32 v18, v20, v22
	v_fmamk_f16 v17, v33, 0x3b9c, v13
	v_fmac_f16_e32 v13, 0xbb9c, v33
	v_fmac_f16_e32 v11, -0.5, v19
	v_add_f16_e32 v0, v0, v1
	v_sub_f16_e32 v1, v6, v8
	v_fmac_f16_e32 v17, 0xb8b4, v15
	v_fmac_f16_e32 v13, 0x38b4, v15
	v_sub_f16_e32 v20, v3, v4
	s_delay_alu instid0(VALU_DEP_3) | instskip(NEXT) | instid1(VALU_DEP_3)
	v_fmac_f16_e32 v17, 0x34f2, v10
	v_fmac_f16_e32 v13, 0x34f2, v10
	v_add_f16_e32 v10, v16, v18
	v_fmamk_f16 v16, v37, 0xbb9c, v11
	v_fmac_f16_e32 v11, 0x3b9c, v37
	v_sub_f16_e32 v18, v2, v5
	s_delay_alu instid0(VALU_DEP_3) | instskip(NEXT) | instid1(VALU_DEP_3)
	v_fmac_f16_e32 v16, 0x38b4, v35
	v_fmac_f16_e32 v11, 0xb8b4, v35
	s_delay_alu instid0(VALU_DEP_2) | instskip(NEXT) | instid1(VALU_DEP_2)
	v_fmac_f16_e32 v16, 0x34f2, v10
	v_fmac_f16_e32 v11, 0x34f2, v10
	s_delay_alu instid0(VALU_DEP_2) | instskip(NEXT) | instid1(VALU_DEP_2)
	v_pack_b32_f16 v10, v17, v16
	v_pack_b32_f16 v11, v13, v11
	v_sub_f16_e32 v13, v6, v9
	v_add_f16_e32 v17, v8, v7
	v_sub_f16_e32 v16, v8, v7
	ds_store_2addr_b32 v201, v10, v11 offset0:6 offset1:9
	v_sub_f16_e32 v10, v9, v7
	v_lshrrev_b32_e32 v11, 16, v14
	s_delay_alu instid0(VALU_DEP_2) | instskip(SKIP_1) | instid1(VALU_DEP_3)
	v_add_f16_e32 v1, v1, v10
	v_add_f16_e32 v10, v14, v2
	;; [unrolled: 1-line block ×3, first 2 shown]
	v_fma_f16 v17, -0.5, v17, v11
	s_delay_alu instid0(VALU_DEP_3) | instskip(NEXT) | instid1(VALU_DEP_3)
	v_add_f16_e32 v10, v10, v3
	v_add_f16_e32 v12, v12, v8
	s_delay_alu instid0(VALU_DEP_3) | instskip(SKIP_1) | instid1(VALU_DEP_4)
	v_fmamk_f16 v19, v18, 0x3b9c, v17
	v_fmac_f16_e32 v17, 0xbb9c, v18
	v_add_f16_e32 v10, v10, v4
	s_delay_alu instid0(VALU_DEP_4)
	v_add_f16_e32 v12, v12, v7
	v_sub_f16_e32 v7, v7, v9
	v_fmac_f16_e32 v19, 0x38b4, v20
	v_fmac_f16_e32 v17, 0xb8b4, v20
	v_add_f16_e32 v10, v10, v5
	v_add_f16_e32 v12, v12, v9
	s_delay_alu instid0(VALU_DEP_4) | instskip(NEXT) | instid1(VALU_DEP_4)
	v_fmac_f16_e32 v19, 0x34f2, v1
	v_fmac_f16_e32 v17, 0x34f2, v1
	s_delay_alu instid0(VALU_DEP_3)
	v_pack_b32_f16 v10, v10, v12
	v_add_f16_e32 v12, v3, v4
	v_sub_f16_e32 v3, v3, v2
	v_add_f16_e32 v2, v2, v5
	v_sub_f16_e32 v4, v4, v5
	v_sub_f16_e32 v5, v8, v6
	v_add_f16_e32 v6, v6, v9
	v_fma_f16 v12, -0.5, v12, v14
	v_fmac_f16_e32 v14, -0.5, v2
	v_add_f16_e32 v2, v3, v4
	v_add_f16_e32 v3, v5, v7
	v_fmac_f16_e32 v11, -0.5, v6
	v_fmamk_f16 v15, v13, 0xbb9c, v12
	v_fmamk_f16 v4, v16, 0x3b9c, v14
	v_fmac_f16_e32 v14, 0xbb9c, v16
	v_fmac_f16_e32 v12, 0x3b9c, v13
	v_fmamk_f16 v5, v20, 0xbb9c, v11
	v_fmac_f16_e32 v11, 0x3b9c, v20
	v_fmac_f16_e32 v15, 0xb8b4, v16
	;; [unrolled: 1-line block ×13, first 2 shown]
	v_pack_b32_f16 v15, v15, v19
	v_lshrrev_b32_e32 v8, 16, v119
	v_pack_b32_f16 v6, v14, v11
	v_pack_b32_f16 v2, v4, v5
	;; [unrolled: 1-line block ×3, first 2 shown]
	ds_store_2addr_b32 v208, v10, v15 offset1:3
	v_lshrrev_b32_e32 v4, 16, v117
	v_lshrrev_b32_e32 v10, 16, v120
	ds_store_2addr_b32 v208, v2, v6 offset0:6 offset1:9
	ds_store_b32 v208, v0 offset:48
	global_wb scope:SCOPE_SE
	s_wait_dscnt 0x0
	s_barrier_signal -1
	s_barrier_wait -1
	global_inv scope:SCOPE_SE
	ds_load_2addr_b32 v[0:1], v45 offset0:110 offset1:235
	v_lshrrev_b32_e32 v6, 16, v118
	v_lshrrev_b32_e32 v16, 16, v149
	s_wait_dscnt 0x0
	v_lshrrev_b32_e32 v2, 16, v0
	v_mul_f16_e32 v3, v4, v0
	s_delay_alu instid0(VALU_DEP_2) | instskip(NEXT) | instid1(VALU_DEP_2)
	v_mul_f16_e64 v139, v4, v2
	v_fma_f16 v136, v117, v2, -v3
	ds_load_2addr_b32 v[2:3], v62 offset0:92 offset1:217
	v_fmac_f16_e64 v139, v117, v0
	v_lshrrev_b32_e32 v0, 16, v1
	s_wait_dscnt 0x0
	v_lshrrev_b32_e32 v4, 16, v2
	v_mul_f16_e32 v5, v6, v2
	s_delay_alu instid0(VALU_DEP_2) | instskip(NEXT) | instid1(VALU_DEP_2)
	v_mul_f16_e64 v141, v6, v4
	v_fma_f16 v140, v118, v4, -v5
	ds_load_2addr_b32 v[4:5], v185 offset0:74 offset1:199
	v_fmac_f16_e64 v141, v118, v2
	v_lshrrev_b32_e32 v2, 16, v160
	s_delay_alu instid0(VALU_DEP_1) | instskip(NEXT) | instid1(VALU_DEP_1)
	v_mul_f16_e32 v98, v2, v0
	v_fmac_f16_e64 v98, v160, v1
	v_mul_f16_e32 v1, v2, v1
	v_lshrrev_b32_e32 v2, 16, v3
	s_wait_dscnt 0x0
	v_lshrrev_b32_e32 v6, 16, v4
	v_mul_f16_e32 v7, v8, v4
	v_fma_f16 v116, v160, v0, -v1
	ds_load_2addr_b32 v[0:1], v224 offset0:104 offset1:229
	v_mul_f16_e64 v151, v8, v6
	v_fma_f16 v150, v119, v6, -v7
	ds_load_2addr_b32 v[6:7], v44 offset0:56 offset1:181
	v_fmac_f16_e64 v151, v119, v4
	v_lshrrev_b32_e32 v4, 16, v161
	v_add_f16_e64 v39, v140, v150
	v_sub_f16_e64 v38, v140, v150
	s_delay_alu instid0(VALU_DEP_4) | instskip(NEXT) | instid1(VALU_DEP_4)
	v_sub_f16_e64 v50, v141, v151
	v_mul_f16_e32 v102, v4, v2
	s_delay_alu instid0(VALU_DEP_1)
	v_fmac_f16_e64 v102, v161, v3
	v_mul_f16_e32 v3, v4, v3
	v_lshrrev_b32_e32 v4, 16, v5
	s_wait_dscnt 0x0
	v_lshrrev_b32_e32 v8, 16, v6
	v_mul_f16_e32 v9, v10, v6
	v_fma_f16 v127, v161, v2, -v3
	v_lshrrev_b32_e32 v2, 16, v0
	s_delay_alu instid0(VALU_DEP_4) | instskip(NEXT) | instid1(VALU_DEP_4)
	v_mul_f16_e64 v152, v10, v8
	v_fma_f16 v145, v120, v8, -v9
	v_lshrrev_b32_e32 v8, 16, v163
	v_lshrrev_b32_e32 v10, 16, v124
	s_delay_alu instid0(VALU_DEP_4) | instskip(SKIP_3) | instid1(VALU_DEP_4)
	v_fmac_f16_e64 v152, v120, v6
	v_lshrrev_b32_e32 v6, 16, v162
	v_sub_f16_e64 v36, v136, v145
	v_sub_f16_e64 v56, v150, v145
	;; [unrolled: 1-line block ×3, first 2 shown]
	s_delay_alu instid0(VALU_DEP_4) | instskip(SKIP_1) | instid1(VALU_DEP_2)
	v_mul_f16_e32 v103, v6, v4
	v_add_f16_e64 v51, v139, v152
	v_fmac_f16_e64 v103, v162, v5
	v_mul_f16_e32 v5, v6, v5
	v_lshrrev_b32_e32 v6, 16, v7
	s_delay_alu instid0(VALU_DEP_2) | instskip(SKIP_1) | instid1(VALU_DEP_3)
	v_fma_f16 v120, v162, v4, -v5
	v_lshrrev_b32_e32 v4, 16, v121
	v_mul_f16_e32 v112, v8, v6
	v_mul_f16_e32 v8, v8, v7
	s_delay_alu instid0(VALU_DEP_3) | instskip(SKIP_1) | instid1(VALU_DEP_3)
	v_mul_f16_e32 v3, v4, v0
	v_mul_f16_e32 v47, v4, v2
	v_fma_f16 v128, v163, v6, -v8
	v_lshrrev_b32_e32 v6, 16, v122
	v_lshrrev_b32_e32 v8, 16, v123
	v_fma_f16 v46, v121, v2, -v3
	ds_load_2addr_b32 v[2:3], v101 offset0:86 offset1:211
	v_fmac_f16_e64 v112, v163, v7
	v_fmac_f16_e32 v47, v121, v0
	v_lshrrev_b32_e32 v0, 16, v1
	v_sub_f16_e64 v57, v120, v128
	s_wait_dscnt 0x0
	v_lshrrev_b32_e32 v4, 16, v2
	v_mul_f16_e32 v5, v6, v2
	s_delay_alu instid0(VALU_DEP_2) | instskip(NEXT) | instid1(VALU_DEP_2)
	v_mul_f16_e32 v53, v6, v4
	v_fma_f16 v52, v122, v4, -v5
	ds_load_2addr_b32 v[4:5], v243 offset0:68 offset1:193
	v_fmac_f16_e32 v53, v122, v2
	v_lshrrev_b32_e32 v2, 16, v195
	s_delay_alu instid0(VALU_DEP_1) | instskip(NEXT) | instid1(VALU_DEP_1)
	v_mul_f16_e32 v18, v2, v0
	v_fmac_f16_e64 v18, v195, v1
	v_mul_f16_e32 v1, v2, v1
	v_lshrrev_b32_e32 v2, 16, v3
	s_wait_dscnt 0x0
	v_lshrrev_b32_e32 v6, 16, v4
	v_mul_f16_e32 v7, v8, v4
	v_fma_f16 v22, v195, v0, -v1
	ds_load_2addr_b32 v[0:1], v174 offset0:98 offset1:223
	v_mul_f16_e32 v55, v8, v6
	v_fma_f16 v54, v123, v6, -v7
	ds_load_2addr_b32 v[6:7], v100 offset0:50 offset1:175
	v_fmac_f16_e32 v55, v123, v4
	v_lshrrev_b32_e32 v4, 16, v196
	s_delay_alu instid0(VALU_DEP_1) | instskip(NEXT) | instid1(VALU_DEP_1)
	v_mul_f16_e32 v19, v4, v2
	v_fmac_f16_e64 v19, v196, v3
	v_mul_f16_e32 v3, v4, v3
	v_lshrrev_b32_e32 v4, 16, v5
	s_wait_dscnt 0x0
	v_lshrrev_b32_e32 v8, 16, v6
	v_mul_f16_e32 v9, v10, v6
	v_fma_f16 v44, v196, v2, -v3
	v_lshrrev_b32_e32 v2, 16, v0
	s_delay_alu instid0(VALU_DEP_4) | instskip(NEXT) | instid1(VALU_DEP_4)
	v_mul_f16_e32 v97, v10, v8
	v_fma_f16 v96, v124, v8, -v9
	v_lshrrev_b32_e32 v8, 16, v198
	s_delay_alu instid0(VALU_DEP_3) | instskip(SKIP_1) | instid1(VALU_DEP_1)
	v_fmac_f16_e32 v97, v124, v6
	v_lshrrev_b32_e32 v6, 16, v197
	v_mul_f16_e32 v20, v6, v4
	s_delay_alu instid0(VALU_DEP_1) | instskip(SKIP_2) | instid1(VALU_DEP_2)
	v_fmac_f16_e64 v20, v197, v5
	v_mul_f16_e32 v5, v6, v5
	v_lshrrev_b32_e32 v6, 16, v7
	v_fma_f16 v23, v197, v4, -v5
	v_lshrrev_b32_e32 v4, 16, v146
	s_delay_alu instid0(VALU_DEP_3) | instskip(SKIP_1) | instid1(VALU_DEP_3)
	v_mul_f16_e32 v21, v8, v6
	v_mul_f16_e32 v8, v8, v7
	;; [unrolled: 1-line block ×4, first 2 shown]
	s_delay_alu instid0(VALU_DEP_3)
	v_fma_f16 v45, v198, v6, -v8
	v_lshrrev_b32_e32 v6, 16, v147
	v_lshrrev_b32_e32 v8, 16, v148
	v_fma_f16 v10, v146, v2, -v3
	ds_load_2addr_b32 v[3:4], v142 offset0:80 offset1:205
	v_fmac_f16_e64 v21, v198, v7
	v_fmac_f16_e64 v11, v146, v0
	v_lshrrev_b32_e32 v0, 16, v1
	s_wait_dscnt 0x0
	v_lshrrev_b32_e32 v2, 16, v3
	v_mul_f16_e32 v5, v6, v3
	s_delay_alu instid0(VALU_DEP_2) | instskip(NEXT) | instid1(VALU_DEP_2)
	v_mul_f16_e32 v13, v6, v2
	v_fma_f16 v12, v147, v2, -v5
	ds_load_2addr_b32 v[5:6], v250 offset0:62 offset1:187
	v_fmac_f16_e64 v13, v147, v3
	s_wait_dscnt 0x0
	v_lshrrev_b32_e32 v2, 16, v5
	v_mul_f16_e32 v7, v8, v5
	v_lshrrev_b32_e32 v32, 16, v6
	s_delay_alu instid0(VALU_DEP_3) | instskip(NEXT) | instid1(VALU_DEP_3)
	v_mul_f16_e32 v15, v8, v2
	v_fma_f16 v14, v148, v2, -v7
	ds_load_2addr_b32 v[7:8], v154 offset0:44 offset1:169
	v_fmac_f16_e64 v15, v148, v5
	v_lshrrev_b32_e32 v5, 16, v167
	s_wait_dscnt 0x0
	v_lshrrev_b32_e32 v2, 16, v7
	v_mul_f16_e32 v9, v16, v7
	v_lshrrev_b32_e32 v34, 16, v8
	v_mul_f16_e64 v35, v249, v8
	s_delay_alu instid0(VALU_DEP_4) | instskip(NEXT) | instid1(VALU_DEP_4)
	v_mul_f16_e32 v17, v16, v2
	v_fma_f16 v16, v149, v2, -v9
	v_mul_f16_e64 v2, v238, v0
	v_mul_f16_e32 v9, v5, v4
	s_delay_alu instid0(VALU_DEP_4) | instskip(SKIP_1) | instid1(VALU_DEP_4)
	v_fmac_f16_e64 v17, v149, v7
	v_lshrrev_b32_e32 v7, 16, v4
	v_fmac_f16_e64 v2, v166, v1
	v_mul_f16_e64 v1, v238, v1
	s_delay_alu instid0(VALU_DEP_3) | instskip(SKIP_1) | instid1(VALU_DEP_2)
	v_mul_f16_e32 v3, v5, v7
	v_lshrrev_b32_e32 v5, 16, v168
	v_fmac_f16_e64 v3, v167, v4
	s_delay_alu instid0(VALU_DEP_2) | instskip(SKIP_2) | instid1(VALU_DEP_3)
	v_mul_f16_e32 v4, v5, v32
	v_mul_f16_e32 v33, v5, v6
	v_mul_f16_e64 v5, v249, v34
	v_fmac_f16_e64 v4, v168, v6
	v_fma_f16 v6, v166, v0, -v1
	v_sub_f16_e64 v0, v139, v141
	v_sub_f16_e64 v1, v152, v151
	v_fmac_f16_e64 v5, v169, v8
	v_fma_f16 v8, v167, v7, -v9
	v_fma_f16 v7, v168, v32, -v33
	;; [unrolled: 1-line block ×3, first 2 shown]
	v_add_f16_e32 v40, v0, v1
	v_sub_f16_e64 v0, v136, v140
	v_sub_f16_e64 v1, v145, v150
	s_delay_alu instid0(VALU_DEP_1) | instskip(SKIP_4) | instid1(VALU_DEP_2)
	v_add_f16_e32 v32, v0, v1
	ds_load_2addr_b32 v[0:1], v165 offset1:125
	s_wait_dscnt 0x0
	v_lshrrev_b32_e32 v34, 16, v0
	v_add_f16_e64 v33, v0, v139
	v_add_f16_e64 v35, v34, v136
	s_delay_alu instid0(VALU_DEP_2) | instskip(SKIP_1) | instid1(VALU_DEP_3)
	v_add_f16_e64 v33, v33, v141
	v_fma_f16 v39, -0.5, v39, v34
	v_add_f16_e64 v35, v35, v140
	s_delay_alu instid0(VALU_DEP_3) | instskip(NEXT) | instid1(VALU_DEP_3)
	v_add_f16_e64 v33, v33, v151
	v_fmamk_f16 v41, v43, 0x3b9c, v39
	v_fmac_f16_e32 v39, 0xbb9c, v43
	s_delay_alu instid0(VALU_DEP_4) | instskip(NEXT) | instid1(VALU_DEP_4)
	v_add_f16_e64 v35, v35, v150
	v_add_f16_e64 v33, v33, v152
	s_delay_alu instid0(VALU_DEP_4) | instskip(NEXT) | instid1(VALU_DEP_4)
	v_fmac_f16_e32 v41, 0x38b4, v50
	v_fmac_f16_e32 v39, 0xb8b4, v50
	s_delay_alu instid0(VALU_DEP_4) | instskip(NEXT) | instid1(VALU_DEP_3)
	v_add_f16_e64 v35, v35, v145
	v_fmac_f16_e32 v41, 0x34f2, v32
	s_delay_alu instid0(VALU_DEP_3) | instskip(SKIP_1) | instid1(VALU_DEP_4)
	v_fmac_f16_e32 v39, 0x34f2, v32
	v_sub_f16_e32 v32, v112, v103
	v_pack_b32_f16 v33, v33, v35
	v_add_f16_e64 v35, v141, v151
	s_delay_alu instid0(VALU_DEP_1) | instskip(SKIP_1) | instid1(VALU_DEP_2)
	v_fma_f16 v35, -0.5, v35, v0
	v_fma_f16 v0, -0.5, v51, v0
	v_fmamk_f16 v37, v36, 0xbb9c, v35
	s_delay_alu instid0(VALU_DEP_2) | instskip(SKIP_2) | instid1(VALU_DEP_4)
	v_fmamk_f16 v51, v38, 0x3b9c, v0
	v_fmac_f16_e32 v0, 0xbb9c, v38
	v_fmac_f16_e32 v35, 0x3b9c, v36
	;; [unrolled: 1-line block ×3, first 2 shown]
	s_delay_alu instid0(VALU_DEP_4) | instskip(NEXT) | instid1(VALU_DEP_4)
	v_fmac_f16_e32 v51, 0xb8b4, v36
	v_fmac_f16_e32 v0, 0x38b4, v36
	s_delay_alu instid0(VALU_DEP_4) | instskip(SKIP_3) | instid1(VALU_DEP_4)
	v_fmac_f16_e32 v35, 0x38b4, v38
	v_sub_f16_e64 v36, v116, v128
	v_fmac_f16_e32 v37, 0x34f2, v40
	v_sub_f16_e32 v38, v127, v120
	v_fmac_f16_e32 v35, 0x34f2, v40
	v_sub_f16_e32 v40, v98, v112
	s_delay_alu instid0(VALU_DEP_4)
	v_pack_b32_f16 v37, v37, v41
	ds_load_2addr_b32 v[41:42], v156 offset0:122 offset1:247
	ds_load_2addr_b32 v[48:49], v144 offset0:116 offset1:241
	global_wb scope:SCOPE_SE
	s_wait_dscnt 0x0
	s_barrier_signal -1
	s_barrier_wait -1
	global_inv scope:SCOPE_SE
	ds_store_2addr_b32 v210, v33, v37 offset1:15
	v_sub_f16_e64 v33, v141, v139
	v_sub_f16_e64 v37, v151, v152
	s_delay_alu instid0(VALU_DEP_1) | instskip(SKIP_1) | instid1(VALU_DEP_2)
	v_add_f16_e32 v33, v33, v37
	v_add_f16_e64 v37, v136, v145
	v_fmac_f16_e32 v51, 0x34f2, v33
	s_delay_alu instid0(VALU_DEP_2) | instskip(SKIP_2) | instid1(VALU_DEP_2)
	v_fmac_f16_e32 v34, -0.5, v37
	v_sub_f16_e64 v37, v140, v136
	v_fmac_f16_e32 v0, 0x34f2, v33
	v_add_f16_e32 v33, v37, v56
	s_delay_alu instid0(VALU_DEP_4) | instskip(SKIP_3) | instid1(VALU_DEP_4)
	v_fmamk_f16 v37, v50, 0xbb9c, v34
	v_fmac_f16_e32 v34, 0x3b9c, v50
	v_sub_f16_e32 v50, v102, v103
	v_add_f16_e64 v56, v116, v128
	v_fmac_f16_e32 v37, 0x38b4, v43
	s_delay_alu instid0(VALU_DEP_4) | instskip(NEXT) | instid1(VALU_DEP_2)
	v_fmac_f16_e32 v34, 0xb8b4, v43
	v_fmac_f16_e32 v37, 0x34f2, v33
	s_delay_alu instid0(VALU_DEP_2) | instskip(NEXT) | instid1(VALU_DEP_2)
	v_fmac_f16_e32 v34, 0x34f2, v33
	v_pack_b32_f16 v33, v51, v37
	s_delay_alu instid0(VALU_DEP_2)
	v_pack_b32_f16 v0, v0, v34
	v_lshrrev_b32_e32 v34, 16, v1
	v_sub_f16_e32 v51, v127, v116
	ds_store_2addr_b32 v210, v33, v0 offset0:30 offset1:45
	v_pack_b32_f16 v0, v35, v39
	v_sub_f16_e64 v33, v128, v120
	v_add_f16_e32 v35, v34, v116
	v_add_f16_e32 v39, v127, v120
	ds_store_b32 v210, v0 offset:240
	v_sub_f16_e32 v0, v98, v102
	v_add_f16_e32 v35, v35, v127
	v_fma_f16 v39, -0.5, v39, v34
	v_fmac_f16_e32 v34, -0.5, v56
	s_delay_alu instid0(VALU_DEP_4) | instskip(SKIP_4) | instid1(VALU_DEP_4)
	v_add_f16_e32 v0, v0, v32
	v_sub_f16_e32 v32, v116, v127
	v_add_f16_e32 v35, v35, v120
	v_fmamk_f16 v43, v40, 0x3b9c, v39
	v_fmac_f16_e32 v39, 0xbb9c, v40
	v_add_f16_e32 v32, v32, v33
	v_add_f16_e32 v33, v1, v98
	v_add_f16_e64 v35, v35, v128
	v_fmac_f16_e32 v43, 0x38b4, v50
	v_fmac_f16_e32 v39, 0xb8b4, v50
	s_delay_alu instid0(VALU_DEP_4) | instskip(NEXT) | instid1(VALU_DEP_3)
	v_add_f16_e32 v33, v33, v102
	v_fmac_f16_e32 v43, 0x34f2, v32
	s_delay_alu instid0(VALU_DEP_3) | instskip(SKIP_1) | instid1(VALU_DEP_4)
	v_fmac_f16_e32 v39, 0x34f2, v32
	v_sub_f16_e32 v32, v96, v54
	v_add_f16_e32 v33, v33, v103
	s_delay_alu instid0(VALU_DEP_1) | instskip(NEXT) | instid1(VALU_DEP_1)
	v_add_f16_e32 v33, v33, v112
	v_pack_b32_f16 v33, v33, v35
	v_add_f16_e32 v35, v102, v103
	s_delay_alu instid0(VALU_DEP_1) | instskip(NEXT) | instid1(VALU_DEP_1)
	v_fma_f16 v35, -0.5, v35, v1
	v_fmamk_f16 v37, v36, 0xbb9c, v35
	v_fmac_f16_e32 v35, 0x3b9c, v36
	s_delay_alu instid0(VALU_DEP_2) | instskip(NEXT) | instid1(VALU_DEP_2)
	v_fmac_f16_e32 v37, 0xb8b4, v38
	v_fmac_f16_e32 v35, 0x38b4, v38
	s_delay_alu instid0(VALU_DEP_2) | instskip(NEXT) | instid1(VALU_DEP_2)
	v_fmac_f16_e32 v37, 0x34f2, v0
	v_fmac_f16_e32 v35, 0x34f2, v0
	s_delay_alu instid0(VALU_DEP_2) | instskip(SKIP_1) | instid1(VALU_DEP_3)
	v_pack_b32_f16 v37, v37, v43
	v_sub_f16_e32 v43, v103, v112
	v_pack_b32_f16 v0, v35, v39
	v_sub_f16_e32 v35, v46, v96
	v_sub_f16_e32 v39, v47, v97
	ds_store_2addr_b32 v214, v33, v37 offset1:15
	v_add_f16_e32 v37, v98, v112
	v_sub_f16_e32 v33, v102, v98
	ds_store_b32 v214, v0 offset:240
	v_sub_f16_e32 v0, v47, v53
	v_mov_b32_e32 v112, v58
	v_fmac_f16_e32 v1, -0.5, v37
	v_add_f16_e32 v33, v33, v43
	v_add_f16_e32 v37, v51, v57
	v_fmamk_f16 v51, v50, 0xbb9c, v34
	v_fmac_f16_e32 v34, 0x3b9c, v50
	v_fmamk_f16 v43, v38, 0x3b9c, v1
	v_fmac_f16_e32 v1, 0xbb9c, v38
	v_add_f16_e32 v38, v52, v54
	v_fmac_f16_e32 v51, 0x38b4, v40
	v_fmac_f16_e32 v34, 0xb8b4, v40
	;; [unrolled: 1-line block ×4, first 2 shown]
	s_delay_alu instid0(VALU_DEP_4) | instskip(NEXT) | instid1(VALU_DEP_4)
	v_fmac_f16_e32 v51, 0x34f2, v37
	v_fmac_f16_e32 v34, 0x34f2, v37
	s_delay_alu instid0(VALU_DEP_4) | instskip(NEXT) | instid1(VALU_DEP_4)
	v_fmac_f16_e32 v43, 0x34f2, v33
	v_fmac_f16_e32 v1, 0x34f2, v33
	v_sub_f16_e32 v37, v52, v54
	s_delay_alu instid0(VALU_DEP_3) | instskip(NEXT) | instid1(VALU_DEP_3)
	v_pack_b32_f16 v33, v43, v51
	v_pack_b32_f16 v1, v1, v34
	v_sub_f16_e32 v43, v53, v55
	ds_store_2addr_b32 v214, v33, v1 offset0:30 offset1:45
	v_sub_f16_e32 v1, v97, v55
	v_lshrrev_b32_e32 v33, 16, v41
	s_delay_alu instid0(VALU_DEP_2) | instskip(SKIP_1) | instid1(VALU_DEP_3)
	v_add_f16_e32 v0, v0, v1
	v_sub_f16_e32 v1, v46, v52
	v_add_f16_e32 v34, v33, v46
	v_fma_f16 v38, -0.5, v38, v33
	s_delay_alu instid0(VALU_DEP_3) | instskip(SKIP_1) | instid1(VALU_DEP_4)
	v_add_f16_e32 v1, v1, v32
	v_add_f16_e32 v32, v41, v47
	;; [unrolled: 1-line block ×3, first 2 shown]
	s_delay_alu instid0(VALU_DEP_4) | instskip(SKIP_1) | instid1(VALU_DEP_4)
	v_fmamk_f16 v40, v39, 0x3b9c, v38
	v_fmac_f16_e32 v38, 0xbb9c, v39
	v_add_f16_e32 v32, v32, v53
	s_delay_alu instid0(VALU_DEP_4) | instskip(NEXT) | instid1(VALU_DEP_4)
	v_add_f16_e32 v34, v34, v54
	v_fmac_f16_e32 v40, 0x38b4, v43
	s_delay_alu instid0(VALU_DEP_4) | instskip(NEXT) | instid1(VALU_DEP_4)
	v_fmac_f16_e32 v38, 0xb8b4, v43
	v_add_f16_e32 v32, v32, v55
	s_delay_alu instid0(VALU_DEP_4) | instskip(NEXT) | instid1(VALU_DEP_4)
	v_add_f16_e32 v34, v34, v96
	v_fmac_f16_e32 v40, 0x34f2, v1
	s_delay_alu instid0(VALU_DEP_4) | instskip(SKIP_2) | instid1(VALU_DEP_1)
	v_fmac_f16_e32 v38, 0x34f2, v1
	v_sub_f16_e32 v1, v21, v20
	v_add_f16_e32 v32, v32, v97
	v_pack_b32_f16 v32, v32, v34
	v_add_f16_e32 v34, v53, v55
	s_delay_alu instid0(VALU_DEP_1) | instskip(NEXT) | instid1(VALU_DEP_1)
	v_fma_f16 v34, -0.5, v34, v41
	v_fmamk_f16 v36, v35, 0xbb9c, v34
	v_fmac_f16_e32 v34, 0x3b9c, v35
	s_delay_alu instid0(VALU_DEP_2) | instskip(NEXT) | instid1(VALU_DEP_2)
	v_fmac_f16_e32 v36, 0xb8b4, v37
	v_fmac_f16_e32 v34, 0x38b4, v37
	s_delay_alu instid0(VALU_DEP_2) | instskip(NEXT) | instid1(VALU_DEP_2)
	v_fmac_f16_e32 v36, 0x34f2, v0
	v_fmac_f16_e32 v34, 0x34f2, v0
	s_delay_alu instid0(VALU_DEP_2) | instskip(SKIP_1) | instid1(VALU_DEP_3)
	v_pack_b32_f16 v36, v36, v40
	v_add_f16_e32 v40, v47, v97
	v_pack_b32_f16 v0, v34, v38
	v_add_f16_e32 v38, v44, v23
	ds_store_2addr_b32 v220, v32, v36 offset1:15
	v_sub_f16_e32 v32, v53, v47
	v_sub_f16_e32 v36, v55, v97
	v_fma_f16 v40, -0.5, v40, v41
	ds_store_b32 v220, v0 offset:240
	v_sub_f16_e32 v0, v18, v19
	v_add_f16_e32 v32, v32, v36
	v_add_f16_e32 v36, v46, v96
	v_fmamk_f16 v41, v37, 0x3b9c, v40
	v_fmac_f16_e32 v40, 0xbb9c, v37
	v_add_f16_e32 v0, v0, v1
	v_sub_f16_e32 v1, v22, v44
	v_fmac_f16_e32 v33, -0.5, v36
	v_sub_f16_e32 v36, v52, v46
	v_sub_f16_e32 v46, v54, v96
	v_fmac_f16_e32 v41, 0xb8b4, v35
	v_fmac_f16_e32 v40, 0x38b4, v35
	v_sub_f16_e32 v35, v22, v45
	v_sub_f16_e32 v37, v44, v23
	s_delay_alu instid0(VALU_DEP_4) | instskip(NEXT) | instid1(VALU_DEP_4)
	v_fmac_f16_e32 v41, 0x34f2, v32
	v_fmac_f16_e32 v40, 0x34f2, v32
	v_add_f16_e32 v32, v36, v46
	v_fmamk_f16 v36, v43, 0xbb9c, v33
	v_fmac_f16_e32 v33, 0x3b9c, v43
	s_delay_alu instid0(VALU_DEP_2) | instskip(NEXT) | instid1(VALU_DEP_2)
	v_fmac_f16_e32 v36, 0x38b4, v39
	v_fmac_f16_e32 v33, 0xb8b4, v39
	v_sub_f16_e32 v39, v18, v21
	s_delay_alu instid0(VALU_DEP_3) | instskip(NEXT) | instid1(VALU_DEP_3)
	v_fmac_f16_e32 v36, 0x34f2, v32
	v_fmac_f16_e32 v33, 0x34f2, v32
	s_delay_alu instid0(VALU_DEP_2) | instskip(NEXT) | instid1(VALU_DEP_2)
	v_pack_b32_f16 v32, v41, v36
	v_pack_b32_f16 v33, v40, v33
	v_sub_f16_e32 v41, v19, v20
	ds_store_2addr_b32 v220, v32, v33 offset0:30 offset1:45
	v_sub_f16_e32 v32, v45, v23
	v_lshrrev_b32_e32 v33, 16, v42
	s_delay_alu instid0(VALU_DEP_2) | instskip(SKIP_1) | instid1(VALU_DEP_3)
	v_add_f16_e32 v1, v1, v32
	v_add_f16_e32 v32, v42, v18
	;; [unrolled: 1-line block ×3, first 2 shown]
	v_fma_f16 v38, -0.5, v38, v33
	s_delay_alu instid0(VALU_DEP_3) | instskip(NEXT) | instid1(VALU_DEP_3)
	v_add_f16_e32 v32, v32, v19
	v_add_f16_e32 v34, v34, v44
	s_delay_alu instid0(VALU_DEP_3) | instskip(SKIP_1) | instid1(VALU_DEP_4)
	v_fmamk_f16 v40, v39, 0x3b9c, v38
	v_fmac_f16_e32 v38, 0xbb9c, v39
	v_add_f16_e32 v32, v32, v20
	s_delay_alu instid0(VALU_DEP_4) | instskip(SKIP_1) | instid1(VALU_DEP_4)
	v_add_f16_e32 v34, v34, v23
	v_sub_f16_e32 v23, v23, v45
	v_fmac_f16_e32 v38, 0xb8b4, v41
	v_fmac_f16_e32 v40, 0x38b4, v41
	v_add_f16_e32 v32, v32, v21
	v_add_f16_e32 v34, v34, v45
	s_delay_alu instid0(VALU_DEP_4) | instskip(NEXT) | instid1(VALU_DEP_4)
	v_fmac_f16_e32 v38, 0x34f2, v1
	v_fmac_f16_e32 v40, 0x34f2, v1
	v_sub_f16_e32 v1, v17, v15
	s_delay_alu instid0(VALU_DEP_4)
	v_pack_b32_f16 v32, v32, v34
	v_add_f16_e32 v34, v19, v20
	v_sub_f16_e32 v19, v19, v18
	v_add_f16_e32 v18, v18, v21
	v_sub_f16_e32 v20, v20, v21
	v_sub_f16_e32 v21, v44, v22
	v_fma_f16 v34, -0.5, v34, v42
	v_add_f16_e32 v22, v22, v45
	v_fmac_f16_e32 v42, -0.5, v18
	v_add_f16_e32 v18, v19, v20
	v_add_f16_e32 v19, v21, v23
	v_fmamk_f16 v36, v35, 0xbb9c, v34
	v_fmac_f16_e32 v33, -0.5, v22
	v_fmac_f16_e32 v34, 0x3b9c, v35
	v_fmamk_f16 v20, v37, 0x3b9c, v42
	v_fmac_f16_e32 v42, 0xbb9c, v37
	v_fmac_f16_e32 v36, 0xb8b4, v37
	v_fmamk_f16 v21, v41, 0xbb9c, v33
	v_fmac_f16_e32 v33, 0x3b9c, v41
	v_fmac_f16_e32 v34, 0x38b4, v37
	;; [unrolled: 1-line block ×12, first 2 shown]
	v_pack_b32_f16 v0, v34, v38
	v_lshrrev_b32_e32 v19, 16, v48
	v_pack_b32_f16 v36, v36, v40
	v_pack_b32_f16 v22, v42, v33
	;; [unrolled: 1-line block ×3, first 2 shown]
	ds_store_b32 v227, v0 offset:240
	v_sub_f16_e32 v0, v11, v13
	v_add_f16_e32 v20, v19, v10
	ds_store_2addr_b32 v227, v32, v36 offset1:15
	ds_store_2addr_b32 v227, v18, v22 offset0:30 offset1:45
	v_sub_f16_e32 v18, v16, v14
	v_add_f16_e32 v0, v0, v1
	v_sub_f16_e32 v1, v10, v12
	v_add_f16_e32 v20, v20, v12
	v_add_f16_e32 v32, v12, v14
	v_sub_f16_e32 v35, v13, v15
	v_sub_f16_e32 v21, v10, v16
	v_add_f16_e32 v1, v1, v18
	v_add_f16_e32 v18, v48, v11
	;; [unrolled: 1-line block ×3, first 2 shown]
	v_fma_f16 v32, -0.5, v32, v19
	v_sub_f16_e32 v33, v11, v17
	v_sub_f16_e32 v23, v12, v14
	v_add_f16_e32 v18, v18, v13
	v_add_f16_e32 v20, v20, v16
	s_delay_alu instid0(VALU_DEP_4) | instskip(SKIP_1) | instid1(VALU_DEP_4)
	v_fmamk_f16 v34, v33, 0x3b9c, v32
	v_fmac_f16_e32 v32, 0xbb9c, v33
	v_add_f16_e32 v18, v18, v15
	s_delay_alu instid0(VALU_DEP_3) | instskip(NEXT) | instid1(VALU_DEP_3)
	v_fmac_f16_e32 v34, 0x38b4, v35
	v_fmac_f16_e32 v32, 0xb8b4, v35
	s_delay_alu instid0(VALU_DEP_3) | instskip(NEXT) | instid1(VALU_DEP_3)
	v_add_f16_e32 v18, v18, v17
	v_fmac_f16_e32 v34, 0x34f2, v1
	s_delay_alu instid0(VALU_DEP_3) | instskip(NEXT) | instid1(VALU_DEP_3)
	v_fmac_f16_e32 v32, 0x34f2, v1
	v_pack_b32_f16 v18, v18, v20
	v_add_f16_e32 v20, v13, v15
	v_sub_f16_e32 v13, v13, v11
	v_sub_f16_e32 v15, v15, v17
	v_add_f16_e32 v11, v11, v17
	v_sub_f16_e32 v1, v5, v4
	v_fma_f16 v20, -0.5, v20, v48
	v_sub_f16_e32 v17, v2, v5
	v_add_f16_e32 v13, v13, v15
	v_add_f16_e32 v15, v10, v16
	v_sub_f16_e32 v10, v12, v10
	v_fmamk_f16 v22, v21, 0xbb9c, v20
	v_sub_f16_e32 v12, v14, v16
	v_fma_f16 v11, -0.5, v11, v48
	v_fmac_f16_e32 v19, -0.5, v15
	v_fmac_f16_e32 v20, 0x3b9c, v21
	v_fmac_f16_e32 v22, 0xb8b4, v23
	v_add_f16_e32 v10, v10, v12
	v_fmamk_f16 v14, v23, 0x3b9c, v11
	v_fmac_f16_e32 v11, 0xbb9c, v23
	v_fmamk_f16 v12, v35, 0xbb9c, v19
	v_fmac_f16_e32 v19, 0x3b9c, v35
	v_fmac_f16_e32 v20, 0x38b4, v23
	;; [unrolled: 1-line block ×12, first 2 shown]
	v_pack_b32_f16 v0, v20, v32
	v_sub_f16_e32 v13, v6, v9
	v_add_f16_e32 v16, v8, v7
	v_pack_b32_f16 v10, v14, v12
	v_pack_b32_f16 v11, v11, v19
	ds_store_b32 v235, v0 offset:240
	v_sub_f16_e32 v0, v2, v3
	v_sub_f16_e32 v19, v3, v4
	v_pack_b32_f16 v22, v22, v34
	ds_store_2addr_b32 v235, v10, v11 offset0:30 offset1:45
	v_sub_f16_e32 v10, v9, v7
	v_add_f16_e32 v0, v0, v1
	v_sub_f16_e32 v1, v6, v8
	v_lshrrev_b32_e32 v11, 16, v49
	v_sub_f16_e32 v15, v8, v7
	ds_store_2addr_b32 v235, v18, v22 offset1:15
	v_add_f16_e32 v1, v1, v10
	v_add_f16_e32 v10, v49, v2
	;; [unrolled: 1-line block ×3, first 2 shown]
	v_fma_f16 v16, -0.5, v16, v11
	s_delay_alu instid0(VALU_DEP_3) | instskip(NEXT) | instid1(VALU_DEP_3)
	v_add_f16_e32 v10, v10, v3
	v_add_f16_e32 v12, v12, v8
	s_delay_alu instid0(VALU_DEP_3) | instskip(SKIP_1) | instid1(VALU_DEP_4)
	v_fmamk_f16 v18, v17, 0x3b9c, v16
	v_fmac_f16_e32 v16, 0xbb9c, v17
	v_add_f16_e32 v10, v10, v4
	s_delay_alu instid0(VALU_DEP_4)
	v_add_f16_e32 v12, v12, v7
	v_sub_f16_e32 v7, v7, v9
	v_fmac_f16_e32 v18, 0x38b4, v19
	v_fmac_f16_e32 v16, 0xb8b4, v19
	v_add_f16_e32 v10, v10, v5
	v_add_f16_e32 v12, v12, v9
	s_delay_alu instid0(VALU_DEP_4) | instskip(NEXT) | instid1(VALU_DEP_4)
	v_fmac_f16_e32 v18, 0x34f2, v1
	v_fmac_f16_e32 v16, 0x34f2, v1
	s_delay_alu instid0(VALU_DEP_3)
	v_pack_b32_f16 v10, v10, v12
	v_add_f16_e32 v12, v3, v4
	v_sub_f16_e32 v3, v3, v2
	v_add_f16_e32 v2, v2, v5
	v_sub_f16_e32 v4, v4, v5
	v_sub_f16_e32 v5, v8, v6
	v_add_f16_e32 v6, v6, v9
	v_fma_f16 v12, -0.5, v12, v49
	v_fmac_f16_e32 v49, -0.5, v2
	v_add_f16_e32 v2, v3, v4
	v_add_f16_e32 v3, v5, v7
	v_fmac_f16_e32 v11, -0.5, v6
	v_fmamk_f16 v14, v13, 0xbb9c, v12
	v_fmamk_f16 v4, v15, 0x3b9c, v49
	v_fmac_f16_e32 v49, 0xbb9c, v15
	v_fmac_f16_e32 v12, 0x3b9c, v13
	v_fmamk_f16 v5, v19, 0xbb9c, v11
	v_fmac_f16_e32 v11, 0x3b9c, v19
	v_fmac_f16_e32 v14, 0xb8b4, v15
	;; [unrolled: 1-line block ×13, first 2 shown]
	v_pack_b32_f16 v14, v14, v18
	v_lshrrev_b32_e32 v18, 16, v172
	v_pack_b32_f16 v6, v49, v11
	v_pack_b32_f16 v2, v4, v5
	;; [unrolled: 1-line block ×3, first 2 shown]
	ds_store_2addr_b32 v239, v10, v14 offset1:15
	ds_store_2addr_b32 v239, v2, v6 offset0:30 offset1:45
	ds_store_b32 v239, v0 offset:240
	global_wb scope:SCOPE_SE
	s_wait_dscnt 0x0
	s_barrier_signal -1
	s_barrier_wait -1
	global_inv scope:SCOPE_SE
	ds_load_2addr_b32 v[0:1], v156 offset0:122 offset1:247
	s_wait_dscnt 0x0
	v_lshrrev_b32_e32 v2, 16, v1
	v_mul_f16_e64 v3, v181, v1
	s_delay_alu instid0(VALU_DEP_2) | instskip(NEXT) | instid1(VALU_DEP_2)
	v_mul_f16_e64 v49, v181, v2
	v_fma_f16 v50, v88, v2, -v3
	ds_load_2addr_b32 v[2:3], v58 offset0:110 offset1:235
	v_fmac_f16_e32 v49, v88, v1
	s_wait_dscnt 0x0
	v_lshrrev_b32_e32 v4, 16, v2
	v_mul_f16_e64 v5, v199, v2
	s_delay_alu instid0(VALU_DEP_2) | instskip(NEXT) | instid1(VALU_DEP_2)
	v_mul_f16_e64 v54, v199, v4
	v_fma_f16 v53, v89, v4, -v5
	ds_load_2addr_b32 v[4:5], v224 offset0:104 offset1:229
	v_fmac_f16_e32 v54, v89, v2
	ds_load_2addr_b32 v[1:2], v144 offset0:116 offset1:241
	s_wait_dscnt 0x1
	v_lshrrev_b32_e32 v6, 16, v5
	v_mul_f16_e64 v7, v183, v5
	s_delay_alu instid0(VALU_DEP_2) | instskip(NEXT) | instid1(VALU_DEP_2)
	v_mul_f16_e64 v52, v183, v6
	v_fma_f16 v51, v90, v6, -v7
	ds_load_2addr_b32 v[6:7], v62 offset0:92 offset1:217
	v_fmac_f16_e32 v52, v90, v5
	v_lshrrev_b32_e32 v5, 16, v3
	s_delay_alu instid0(VALU_DEP_1) | instskip(NEXT) | instid1(VALU_DEP_1)
	v_mul_f16_e64 v23, v176, v5
	v_fmac_f16_e32 v23, v93, v3
	v_mul_f16_e64 v3, v176, v3
	s_wait_dscnt 0x0
	v_lshrrev_b32_e32 v8, 16, v6
	v_mul_f16_e64 v9, v202, v6
	s_delay_alu instid0(VALU_DEP_3) | instskip(SKIP_1) | instid1(VALU_DEP_4)
	v_fma_f16 v40, v93, v5, -v3
	v_add_f16_e32 v93, v50, v51
	v_mul_f16_e64 v56, v202, v8
	s_delay_alu instid0(VALU_DEP_4) | instskip(SKIP_2) | instid1(VALU_DEP_4)
	v_fma_f16 v55, v91, v8, -v9
	v_mul_f16_e64 v9, v193, v1
	v_lshrrev_b32_e32 v8, 16, v7
	v_fmac_f16_e32 v56, v91, v6
	v_lshrrev_b32_e32 v6, 16, v1
	s_delay_alu instid0(VALU_DEP_3) | instskip(NEXT) | instid1(VALU_DEP_2)
	v_mul_f16_e64 v41, v175, v8
	v_mul_f16_e64 v20, v193, v6
	v_fma_f16 v21, v92, v6, -v9
	ds_load_2addr_b32 v[5:6], v174 offset0:98 offset1:223
	v_fmac_f16_e32 v41, v95, v7
	v_mul_f16_e64 v7, v175, v7
	v_fmac_f16_e32 v20, v92, v1
	v_lshrrev_b32_e32 v1, 16, v2
	v_add_f16_e32 v92, v49, v52
	s_delay_alu instid0(VALU_DEP_4)
	v_fma_f16 v42, v95, v8, -v7
	v_lshrrev_b32_e32 v7, 16, v178
	s_wait_dscnt 0x0
	v_lshrrev_b32_e32 v3, 16, v5
	v_mul_f16_e64 v9, v189, v5
	v_lshrrev_b32_e32 v10, 16, v6
	s_delay_alu instid0(VALU_DEP_3) | instskip(NEXT) | instid1(VALU_DEP_3)
	v_mul_f16_e64 v44, v189, v3
	v_fma_f16 v43, v94, v3, -v9
	v_lshrrev_b32_e32 v3, 16, v177
	s_delay_alu instid0(VALU_DEP_3) | instskip(NEXT) | instid1(VALU_DEP_2)
	v_fmac_f16_e32 v44, v94, v5
	v_mul_f16_e32 v5, v3, v1
	s_delay_alu instid0(VALU_DEP_1) | instskip(SKIP_2) | instid1(VALU_DEP_1)
	v_fmac_f16_e64 v5, v177, v2
	v_mul_f16_e32 v2, v3, v2
	v_lshrrev_b32_e32 v3, 16, v4
	v_mul_f16_e32 v8, v7, v3
	s_delay_alu instid0(VALU_DEP_1) | instskip(SKIP_2) | instid1(VALU_DEP_1)
	v_fmac_f16_e64 v8, v178, v4
	v_mul_f16_e32 v4, v7, v4
	v_lshrrev_b32_e32 v7, 16, v179
	v_mul_f16_e32 v9, v7, v10
	v_mul_f16_e32 v11, v7, v6
	s_delay_alu instid0(VALU_DEP_4) | instskip(NEXT) | instid1(VALU_DEP_3)
	v_fma_f16 v7, v178, v3, -v4
	v_fmac_f16_e64 v9, v179, v6
	v_fma_f16 v6, v177, v1, -v2
	ds_load_2addr_b32 v[1:2], v101 offset0:86 offset1:211
	v_fma_f16 v11, v179, v10, -v11
	v_lshrrev_b32_e32 v10, 16, v180
	s_wait_dscnt 0x0
	v_lshrrev_b32_e32 v3, 16, v1
	s_delay_alu instid0(VALU_DEP_2) | instskip(NEXT) | instid1(VALU_DEP_2)
	v_mul_f16_e32 v4, v10, v1
	v_mul_f16_e32 v12, v10, v3
	s_delay_alu instid0(VALU_DEP_2) | instskip(SKIP_1) | instid1(VALU_DEP_3)
	v_fma_f16 v10, v180, v3, -v4
	v_mul_f16_e64 v3, v223, v2
	v_fmac_f16_e64 v12, v180, v1
	v_lshrrev_b32_e32 v1, 16, v2
	s_delay_alu instid0(VALU_DEP_1) | instskip(NEXT) | instid1(VALU_DEP_4)
	v_mul_f16_e64 v60, v223, v1
	v_fma_f16 v58, v76, v1, -v3
	s_delay_alu instid0(VALU_DEP_2)
	v_fmac_f16_e32 v60, v76, v2
	ds_load_2addr_b32 v[1:2], v185 offset0:74 offset1:199
	v_add_f16_e32 v93, v93, v58
	v_add_f16_e32 v92, v92, v60
	s_wait_dscnt 0x0
	v_lshrrev_b32_e32 v3, 16, v1
	v_mul_f16_e64 v4, v134, v1
	s_delay_alu instid0(VALU_DEP_2) | instskip(NEXT) | instid1(VALU_DEP_2)
	v_mul_f16_e64 v76, v134, v3
	v_fma_f16 v63, v77, v3, -v4
	ds_load_2addr_b32 v[3:4], v243 offset0:68 offset1:193
	v_fmac_f16_e32 v76, v77, v1
	v_sub_f16_e32 v101, v55, v63
	s_delay_alu instid0(VALU_DEP_2) | instskip(SKIP_3) | instid1(VALU_DEP_2)
	v_sub_f16_e32 v105, v56, v76
	s_wait_dscnt 0x0
	v_lshrrev_b32_e32 v13, 16, v4
	v_mul_f16_e64 v14, v236, v4
	v_mul_f16_e64 v61, v236, v13
	s_delay_alu instid0(VALU_DEP_2) | instskip(SKIP_4) | instid1(VALU_DEP_3)
	v_fma_f16 v59, v78, v13, -v14
	ds_load_2addr_b32 v[13:14], v130 offset0:56 offset1:181
	v_fmac_f16_e32 v61, v78, v4
	v_lshrrev_b32_e32 v4, 16, v2
	v_add_f16_e32 v93, v93, v59
	v_add_f16_e32 v95, v92, v61
	s_delay_alu instid0(VALU_DEP_3) | instskip(NEXT) | instid1(VALU_DEP_1)
	v_mul_f16_e64 v37, v211, v4
	v_fmac_f16_e32 v37, v85, v2
	s_wait_dscnt 0x0
	v_lshrrev_b32_e32 v15, 16, v13
	v_mul_f16_e64 v16, v131, v13
	s_delay_alu instid0(VALU_DEP_2) | instskip(NEXT) | instid1(VALU_DEP_2)
	v_mul_f16_e64 v89, v131, v15
	v_fma_f16 v88, v79, v15, -v16
	v_lshrrev_b32_e32 v15, 16, v14
	v_mul_f16_e64 v16, v192, v14
	s_delay_alu instid0(VALU_DEP_4)
	v_fmac_f16_e32 v89, v79, v13
	v_mul_f16_e64 v13, v211, v2
	ds_load_2addr_b32 v[1:2], v142 offset0:80 offset1:205
	v_mul_f16_e64 v39, v192, v15
	v_fma_f16 v38, v87, v15, -v16
	v_lshrrev_b32_e32 v16, 16, v171
	v_fma_f16 v36, v85, v4, -v13
	v_sub_f16_e32 v85, v60, v61
	v_fmac_f16_e32 v39, v87, v14
	v_sub_f16_e32 v103, v54, v89
	v_sub_f16_e32 v98, v53, v88
	s_wait_dscnt 0x0
	v_lshrrev_b32_e32 v14, 16, v1
	v_mul_f16_e64 v17, v222, v1
	s_delay_alu instid0(VALU_DEP_2) | instskip(NEXT) | instid1(VALU_DEP_2)
	v_mul_f16_e64 v46, v222, v14
	v_fma_f16 v45, v84, v14, -v17
	ds_load_2addr_b32 v[13:14], v250 offset0:62 offset1:187
	v_fmac_f16_e32 v46, v84, v1
	v_lshrrev_b32_e32 v1, 16, v2
	s_wait_dscnt 0x0
	v_lshrrev_b32_e32 v4, 16, v13
	v_mul_f16_e64 v17, v212, v13
	v_mul_f16_e32 v19, v18, v14
	s_delay_alu instid0(VALU_DEP_3) | instskip(NEXT) | instid1(VALU_DEP_3)
	v_mul_f16_e64 v48, v212, v4
	v_fma_f16 v47, v86, v4, -v17
	v_lshrrev_b32_e32 v4, 16, v170
	v_lshrrev_b32_e32 v17, 16, v14
	s_delay_alu instid0(VALU_DEP_4) | instskip(SKIP_1) | instid1(VALU_DEP_4)
	v_fmac_f16_e32 v48, v86, v13
	v_sub_f16_e32 v86, v58, v59
	v_mul_f16_e32 v13, v4, v1
	s_delay_alu instid0(VALU_DEP_4) | instskip(NEXT) | instid1(VALU_DEP_2)
	v_fma_f16 v19, v172, v17, -v19
	v_fmac_f16_e64 v13, v170, v2
	v_mul_f16_e32 v2, v4, v2
	v_lshrrev_b32_e32 v4, 16, v3
	s_delay_alu instid0(VALU_DEP_1) | instskip(NEXT) | instid1(VALU_DEP_1)
	v_mul_f16_e32 v15, v16, v4
	v_fmac_f16_e64 v15, v171, v3
	v_mul_f16_e32 v3, v16, v3
	v_mul_f16_e32 v16, v18, v17
	v_fma_f16 v18, v170, v1, -v2
	ds_load_2addr_b32 v[1:2], v100 offset0:50 offset1:175
	v_lshrrev_b32_e32 v17, 16, v173
	v_fmac_f16_e64 v16, v172, v14
	v_fma_f16 v14, v171, v4, -v3
	s_wait_dscnt 0x0
	v_lshrrev_b32_e32 v3, 16, v1
	v_mul_f16_e32 v4, v17, v1
	s_delay_alu instid0(VALU_DEP_2) | instskip(NEXT) | instid1(VALU_DEP_2)
	v_mul_f16_e32 v22, v17, v3
	v_fma_f16 v17, v173, v3, -v4
	v_lshrrev_b32_e32 v3, 16, v106
	s_delay_alu instid0(VALU_DEP_3) | instskip(SKIP_1) | instid1(VALU_DEP_1)
	v_fmac_f16_e64 v22, v173, v1
	v_lshrrev_b32_e32 v1, 16, v2
	v_mul_f16_e32 v91, v3, v1
	v_mul_f16_e32 v3, v3, v2
	s_delay_alu instid0(VALU_DEP_2) | instskip(NEXT) | instid1(VALU_DEP_2)
	v_fmac_f16_e32 v91, v106, v2
	v_fma_f16 v84, v106, v1, -v3
	v_sub_f16_e32 v1, v54, v56
	v_sub_f16_e32 v2, v89, v76
	s_delay_alu instid0(VALU_DEP_4) | instskip(NEXT) | instid1(VALU_DEP_4)
	v_sub_f16_e32 v87, v52, v91
	v_sub_f16_e32 v90, v51, v84
	v_add_f16_e32 v95, v95, v91
	s_delay_alu instid0(VALU_DEP_4) | instskip(SKIP_3) | instid1(VALU_DEP_2)
	v_add_f16_e32 v35, v1, v2
	v_sub_f16_e32 v1, v53, v55
	v_sub_f16_e32 v2, v88, v63
	v_add_f16_e32 v93, v93, v84
	v_add_f16_e32 v57, v1, v2
	v_sub_f16_e32 v1, v52, v60
	v_sub_f16_e32 v2, v91, v61
	s_delay_alu instid0(VALU_DEP_1) | instskip(SKIP_2) | instid1(VALU_DEP_1)
	v_add_f16_e32 v62, v1, v2
	v_sub_f16_e32 v1, v51, v58
	v_sub_f16_e32 v2, v84, v59
	v_add_f16_e32 v79, v1, v2
	v_add_f16_e32 v1, v60, v61
	s_delay_alu instid0(VALU_DEP_1) | instskip(SKIP_1) | instid1(VALU_DEP_2)
	v_fma_f16 v77, -0.5, v1, v49
	v_add_f16_e32 v1, v58, v59
	v_fmamk_f16 v2, v90, 0xbb9c, v77
	s_delay_alu instid0(VALU_DEP_2) | instskip(SKIP_1) | instid1(VALU_DEP_3)
	v_fma_f16 v78, -0.5, v1, v50
	v_fmac_f16_e32 v77, 0x3b9c, v90
	v_fmac_f16_e32 v2, 0xb8b4, v86
	s_delay_alu instid0(VALU_DEP_3) | instskip(SKIP_1) | instid1(VALU_DEP_4)
	v_fmamk_f16 v1, v87, 0x3b9c, v78
	v_fmac_f16_e32 v78, 0xbb9c, v87
	v_fmac_f16_e32 v77, 0x38b4, v86
	s_delay_alu instid0(VALU_DEP_4) | instskip(NEXT) | instid1(VALU_DEP_4)
	v_fmac_f16_e32 v2, 0x34f2, v62
	v_fmac_f16_e32 v1, 0x38b4, v85
	s_delay_alu instid0(VALU_DEP_4) | instskip(NEXT) | instid1(VALU_DEP_4)
	v_fmac_f16_e32 v78, 0xb8b4, v85
	v_fmac_f16_e32 v77, 0x34f2, v62
	s_delay_alu instid0(VALU_DEP_3) | instskip(NEXT) | instid1(VALU_DEP_3)
	v_fmac_f16_e32 v1, 0x34f2, v79
	v_fmac_f16_e32 v78, 0x34f2, v79
	v_add_f16_e32 v79, v42, v36
	s_delay_alu instid0(VALU_DEP_3) | instskip(SKIP_1) | instid1(VALU_DEP_2)
	v_mul_f16_e32 v32, 0xb8b4, v1
	v_mul_f16_e32 v34, 0x3a79, v1
	v_fmac_f16_e32 v32, 0x3a79, v2
	s_delay_alu instid0(VALU_DEP_2) | instskip(SKIP_4) | instid1(VALU_DEP_2)
	v_fmac_f16_e32 v34, 0x38b4, v2
	ds_load_2addr_b32 v[1:2], v165 offset1:125
	s_wait_dscnt 0x0
	v_lshrrev_b32_e32 v33, 16, v1
	v_add_f16_e32 v3, v1, v54
	v_add_f16_e32 v4, v33, v53
	s_delay_alu instid0(VALU_DEP_2) | instskip(NEXT) | instid1(VALU_DEP_2)
	v_add_f16_e32 v3, v3, v56
	v_add_f16_e32 v4, v4, v55
	s_delay_alu instid0(VALU_DEP_2) | instskip(NEXT) | instid1(VALU_DEP_2)
	;; [unrolled: 3-line block ×4, first 2 shown]
	v_add_f16_e32 v3, v94, v95
	v_add_f16_e32 v4, v92, v93
	s_delay_alu instid0(VALU_DEP_1) | instskip(SKIP_4) | instid1(VALU_DEP_4)
	v_pack_b32_f16 v96, v3, v4
	v_add_f16_e32 v3, v56, v76
	v_sub_f16_e32 v56, v56, v54
	v_add_f16_e32 v54, v54, v89
	v_sub_f16_e32 v76, v76, v89
	v_fma_f16 v97, -0.5, v3, v1
	v_add_f16_e32 v3, v55, v63
	v_sub_f16_e32 v55, v55, v53
	v_add_f16_e32 v53, v53, v88
	v_fma_f16 v1, -0.5, v54, v1
	v_sub_f16_e32 v63, v63, v88
	v_fma_f16 v102, -0.5, v3, v33
	v_add_f16_e32 v56, v56, v76
	v_fmac_f16_e32 v33, -0.5, v53
	v_fmamk_f16 v54, v101, 0x3b9c, v1
	v_fmac_f16_e32 v1, 0xbb9c, v101
	v_add_f16_e32 v53, v55, v63
	v_sub_f16_e32 v55, v60, v52
	v_add_f16_e32 v52, v52, v91
	v_fmac_f16_e32 v54, 0xb8b4, v98
	v_fmac_f16_e32 v1, 0x38b4, v98
	v_fmamk_f16 v60, v105, 0xbb9c, v33
	v_fmac_f16_e32 v33, 0x3b9c, v105
	v_fmac_f16_e32 v49, -0.5, v52
	v_fmac_f16_e32 v54, 0x34f2, v56
	v_fmac_f16_e32 v1, 0x34f2, v56
	v_sub_f16_e32 v56, v61, v91
	v_fmac_f16_e32 v60, 0x38b4, v103
	v_fmac_f16_e32 v33, 0xb8b4, v103
	v_fmamk_f16 v100, v98, 0xbb9c, v97
	v_fmamk_f16 v104, v103, 0x3b9c, v102
	v_add_f16_e32 v52, v55, v56
	v_fmac_f16_e32 v60, 0x34f2, v53
	v_fmac_f16_e32 v33, 0x34f2, v53
	v_add_f16_e32 v53, v51, v84
	v_fmamk_f16 v55, v86, 0x3b9c, v49
	v_fmac_f16_e32 v49, 0xbb9c, v86
	v_sub_f16_e32 v51, v58, v51
	v_fmac_f16_e32 v100, 0xb8b4, v101
	v_fmac_f16_e32 v50, -0.5, v53
	v_fmac_f16_e32 v55, 0xb8b4, v90
	v_fmac_f16_e32 v49, 0x38b4, v90
	v_sub_f16_e32 v53, v59, v84
	v_fmac_f16_e32 v104, 0x38b4, v105
	v_fmac_f16_e32 v100, 0x34f2, v35
	;; [unrolled: 1-line block ×4, first 2 shown]
	v_fmamk_f16 v52, v85, 0xbb9c, v50
	v_add_f16_e32 v51, v51, v53
	v_fmac_f16_e32 v50, 0x3b9c, v85
	v_fmac_f16_e32 v104, 0x34f2, v57
	v_add_f16_e32 v3, v100, v32
	v_fmac_f16_e32 v52, 0x38b4, v87
	v_sub_f16_e32 v32, v100, v32
	v_fmac_f16_e32 v50, 0xb8b4, v87
	v_add_f16_e32 v4, v104, v34
	v_sub_f16_e32 v34, v104, v34
	v_fmac_f16_e32 v52, 0x34f2, v51
	v_fmac_f16_e32 v97, 0x3b9c, v98
	;; [unrolled: 1-line block ×3, first 2 shown]
	v_pack_b32_f16 v106, v3, v4
	ds_load_2addr_b32 v[3:4], v154 offset0:44 offset1:169
	v_mul_f16_e32 v51, 0xbb9c, v52
	v_mul_f16_e32 v52, 0x34f2, v52
	;; [unrolled: 1-line block ×4, first 2 shown]
	global_wb scope:SCOPE_SE
	s_wait_dscnt 0x0
	v_fmac_f16_e32 v51, 0x34f2, v55
	v_fmac_f16_e32 v52, 0x3b9c, v55
	;; [unrolled: 1-line block ×4, first 2 shown]
	s_barrier_signal -1
	v_add_f16_e32 v49, v54, v51
	v_add_f16_e32 v55, v60, v52
	s_barrier_wait -1
	v_add_f16_e32 v56, v33, v50
	global_inv scope:SCOPE_SE
	v_sub_f16_e32 v51, v54, v51
	v_pack_b32_f16 v49, v49, v55
	v_add_f16_e32 v55, v1, v53
	v_sub_f16_e32 v52, v60, v52
	v_pack_b32_f16 v32, v32, v34
	v_sub_f16_e32 v1, v1, v53
	v_sub_f16_e32 v33, v33, v50
	v_pack_b32_f16 v55, v55, v56
	v_sub_f16_e32 v56, v92, v93
	v_pack_b32_f16 v34, v51, v52
	scratch_load_b32 v51, off, off offset:316 th:TH_LOAD_LU ; 4-byte Folded Reload
	v_pack_b32_f16 v1, v1, v33
	scratch_load_b32 v33, off, off offset:320 th:TH_LOAD_LU ; 4-byte Folded Reload
	ds_store_2addr_b32 v251, v49, v55 offset0:150 offset1:225
	v_sub_f16_e32 v55, v94, v95
	v_fmac_f16_e32 v102, 0xbb9c, v103
	v_fmac_f16_e32 v97, 0x38b4, v101
	v_mul_f16_e32 v49, 0xba79, v78
	v_add_f16_e32 v50, v45, v47
	v_pack_b32_f16 v55, v55, v56
	scratch_load_b32 v56, off, off offset:312 th:TH_LOAD_LU ; 4-byte Folded Reload
	v_fmac_f16_e32 v102, 0xb8b4, v105
	v_fmac_f16_e32 v97, 0x34f2, v35
	v_mul_f16_e32 v35, 0xb8b4, v78
	v_fmac_f16_e32 v49, 0x38b4, v77
	v_fma_f16 v50, -0.5, v50, v21
	v_fmac_f16_e32 v102, 0x34f2, v57
	v_sub_f16_e32 v52, v46, v48
	v_fmac_f16_e32 v35, 0xba79, v77
	v_add_f16_e32 v60, v20, v44
	v_add_f16_e32 v61, v21, v43
	;; [unrolled: 1-line block ×3, first 2 shown]
	v_sub_f16_e32 v76, v40, v38
	v_add_f16_e32 v57, v97, v35
	v_add_f16_e32 v60, v60, v46
	;; [unrolled: 1-line block ×3, first 2 shown]
	v_sub_f16_e32 v84, v23, v39
	v_sub_f16_e32 v77, v42, v36
	v_pack_b32_f16 v57, v57, v58
	v_lshrrev_b32_e32 v58, 16, v2
	v_add_f16_e32 v60, v60, v48
	v_add_f16_e32 v61, v61, v47
	v_sub_f16_e32 v85, v41, v37
	ds_store_2addr_b32 v251, v96, v106 offset1:75
	v_add_f16_e32 v59, v58, v40
	v_fma_f16 v79, -0.5, v79, v58
	s_delay_alu instid0(VALU_DEP_2) | instskip(NEXT) | instid1(VALU_DEP_2)
	v_add_f16_e32 v59, v59, v42
	v_fmamk_f16 v86, v84, 0x3b9c, v79
	v_fmac_f16_e32 v79, 0xbb9c, v84
	s_delay_alu instid0(VALU_DEP_3) | instskip(NEXT) | instid1(VALU_DEP_3)
	v_add_f16_e32 v59, v59, v36
	v_fmac_f16_e32 v86, 0x38b4, v85
	s_delay_alu instid0(VALU_DEP_3) | instskip(NEXT) | instid1(VALU_DEP_3)
	v_fmac_f16_e32 v79, 0xb8b4, v85
	v_add_f16_e32 v59, v59, v38
	s_wait_loadcnt 0x2
	ds_store_2addr_b32 v51, v32, v34 offset0:66 offset1:141
	v_sub_f16_e32 v32, v97, v35
	v_sub_f16_e32 v34, v102, v49
	s_delay_alu instid0(VALU_DEP_1)
	v_pack_b32_f16 v32, v32, v34
	v_sub_f16_e32 v34, v38, v36
	v_sub_f16_e32 v36, v36, v38
	s_wait_loadcnt 0x0
	ds_store_2addr_b32 v56, v57, v55 offset0:44 offset1:119
	v_sub_f16_e32 v55, v45, v47
	ds_store_2addr_b32 v33, v1, v32 offset0:88 offset1:163
	v_lshrrev_b32_e32 v1, 16, v3
	v_lshrrev_b32_e32 v33, 16, v209
	s_delay_alu instid0(VALU_DEP_1) | instskip(NEXT) | instid1(VALU_DEP_3)
	v_mul_f16_e32 v32, v33, v3
	v_mul_f16_e32 v33, v33, v1
	s_delay_alu instid0(VALU_DEP_2) | instskip(NEXT) | instid1(VALU_DEP_2)
	v_fma_f16 v1, v209, v1, -v32
	v_fmac_f16_e64 v33, v209, v3
	v_sub_f16_e32 v3, v23, v41
	v_sub_f16_e32 v32, v39, v37
	s_delay_alu instid0(VALU_DEP_4) | instskip(NEXT) | instid1(VALU_DEP_4)
	v_sub_f16_e32 v49, v1, v47
	v_sub_f16_e32 v35, v33, v48
	;; [unrolled: 1-line block ×3, first 2 shown]
	s_delay_alu instid0(VALU_DEP_4)
	v_add_f16_e32 v3, v3, v32
	v_sub_f16_e32 v32, v40, v42
	v_sub_f16_e32 v54, v43, v1
	v_add_f16_e32 v60, v60, v33
	v_fmamk_f16 v53, v51, 0x3b9c, v50
	v_add_f16_e32 v61, v61, v1
	v_add_f16_e32 v32, v32, v34
	v_sub_f16_e32 v34, v44, v46
	v_fmac_f16_e32 v50, 0xbb9c, v51
	v_fmac_f16_e32 v53, 0x38b4, v52
	v_add_f16_e32 v63, v59, v61
	v_fmac_f16_e32 v86, 0x34f2, v32
	v_add_f16_e32 v34, v34, v35
	v_sub_f16_e32 v35, v43, v45
	v_fmac_f16_e32 v50, 0xb8b4, v52
	v_fmac_f16_e32 v79, 0x34f2, v32
	s_delay_alu instid0(VALU_DEP_3) | instskip(SKIP_1) | instid1(VALU_DEP_2)
	v_add_f16_e32 v35, v35, v49
	v_add_f16_e32 v49, v46, v48
	v_fmac_f16_e32 v53, 0x34f2, v35
	s_delay_alu instid0(VALU_DEP_2) | instskip(SKIP_1) | instid1(VALU_DEP_3)
	v_fma_f16 v49, -0.5, v49, v20
	v_fmac_f16_e32 v50, 0x34f2, v35
	v_mul_f16_e32 v57, 0xb8b4, v53
	s_delay_alu instid0(VALU_DEP_3) | instskip(SKIP_2) | instid1(VALU_DEP_3)
	v_fmamk_f16 v56, v54, 0xbb9c, v49
	v_mul_f16_e32 v53, 0x3a79, v53
	v_fmac_f16_e32 v49, 0x3b9c, v54
	v_fmac_f16_e32 v56, 0xb8b4, v55
	s_delay_alu instid0(VALU_DEP_2) | instskip(NEXT) | instid1(VALU_DEP_2)
	v_fmac_f16_e32 v49, 0x38b4, v55
	v_fmac_f16_e32 v56, 0x34f2, v34
	s_delay_alu instid0(VALU_DEP_2) | instskip(SKIP_1) | instid1(VALU_DEP_3)
	v_fmac_f16_e32 v49, 0x34f2, v34
	v_sub_f16_e32 v34, v59, v61
	v_fmac_f16_e32 v57, 0x3a79, v56
	v_fmac_f16_e32 v53, 0x38b4, v56
	v_add_f16_e32 v56, v2, v23
	s_delay_alu instid0(VALU_DEP_2) | instskip(NEXT) | instid1(VALU_DEP_2)
	v_add_f16_e32 v88, v86, v53
	v_add_f16_e32 v56, v56, v41
	s_delay_alu instid0(VALU_DEP_1) | instskip(NEXT) | instid1(VALU_DEP_1)
	v_add_f16_e32 v56, v56, v37
	v_add_f16_e32 v56, v56, v39
	s_delay_alu instid0(VALU_DEP_1) | instskip(SKIP_1) | instid1(VALU_DEP_2)
	v_add_f16_e32 v62, v56, v60
	v_sub_f16_e32 v32, v56, v60
	v_pack_b32_f16 v62, v62, v63
	v_add_f16_e32 v63, v41, v37
	v_sub_f16_e32 v37, v37, v39
	s_delay_alu instid0(VALU_DEP_4) | instskip(SKIP_2) | instid1(VALU_DEP_1)
	v_pack_b32_f16 v32, v32, v34
	scratch_load_b32 v34, off, off offset:300 th:TH_LOAD_LU ; 4-byte Folded Reload
	v_fma_f16 v63, -0.5, v63, v2
	v_fmamk_f16 v78, v76, 0xbb9c, v63
	v_fmac_f16_e32 v63, 0x3b9c, v76
	s_delay_alu instid0(VALU_DEP_2) | instskip(NEXT) | instid1(VALU_DEP_2)
	v_fmac_f16_e32 v78, 0xb8b4, v77
	v_fmac_f16_e32 v63, 0x38b4, v77
	s_delay_alu instid0(VALU_DEP_2) | instskip(NEXT) | instid1(VALU_DEP_2)
	v_fmac_f16_e32 v78, 0x34f2, v3
	v_fmac_f16_e32 v63, 0x34f2, v3
	v_mul_f16_e32 v3, 0xb8b4, v50
	s_delay_alu instid0(VALU_DEP_3) | instskip(NEXT) | instid1(VALU_DEP_2)
	v_add_f16_e32 v87, v78, v57
	v_fmac_f16_e32 v3, 0xba79, v49
	s_delay_alu instid0(VALU_DEP_2) | instskip(NEXT) | instid1(VALU_DEP_2)
	v_pack_b32_f16 v87, v87, v88
	v_add_f16_e32 v35, v63, v3
	ds_store_2addr_b32 v225, v62, v87 offset1:75
	v_add_f16_e32 v62, v23, v39
	v_sub_f16_e32 v23, v41, v23
	v_sub_f16_e32 v39, v46, v44
	v_add_f16_e32 v41, v44, v33
	v_sub_f16_e32 v44, v45, v43
	v_fmac_f16_e32 v2, -0.5, v62
	v_add_f16_e32 v23, v23, v37
	v_add_f16_e32 v37, v40, v38
	;; [unrolled: 1-line block ×3, first 2 shown]
	v_sub_f16_e32 v1, v47, v1
	v_fmamk_f16 v38, v77, 0x3b9c, v2
	v_fmac_f16_e32 v2, 0xbb9c, v77
	v_fmac_f16_e32 v58, -0.5, v37
	v_sub_f16_e32 v37, v42, v40
	v_fmac_f16_e32 v21, -0.5, v43
	v_fmac_f16_e32 v38, 0xb8b4, v76
	v_fmac_f16_e32 v2, 0x38b4, v76
	v_fmac_f16_e32 v20, -0.5, v41
	v_add_f16_e32 v1, v44, v1
	v_sub_f16_e32 v33, v48, v33
	v_fmac_f16_e32 v38, 0x34f2, v23
	v_fmac_f16_e32 v2, 0x34f2, v23
	v_add_f16_e32 v23, v37, v36
	v_fmamk_f16 v36, v85, 0xbb9c, v58
	v_fmac_f16_e32 v58, 0x3b9c, v85
	v_add_f16_e32 v33, v39, v33
	v_lshrrev_b32_e32 v40, 16, v0
	v_add_f16_e32 v42, v5, v9
	v_fmac_f16_e32 v36, 0x38b4, v84
	v_fmac_f16_e32 v58, 0xb8b4, v84
	v_add_f16_e32 v43, v6, v11
	v_add_f16_e32 v41, v40, v7
	;; [unrolled: 1-line block ×3, first 2 shown]
	v_fmac_f16_e32 v36, 0x34f2, v23
	v_fmac_f16_e32 v58, 0x34f2, v23
	v_fmamk_f16 v23, v52, 0xbb9c, v21
	v_fmac_f16_e32 v21, 0x3b9c, v52
	v_add_f16_e32 v41, v41, v10
	v_add_f16_e32 v43, v43, v18
	;; [unrolled: 1-line block ×3, first 2 shown]
	v_fmac_f16_e32 v23, 0x38b4, v51
	v_fmac_f16_e32 v21, 0xb8b4, v51
	v_add_f16_e32 v41, v41, v14
	v_add_f16_e32 v43, v43, v19
	v_sub_f16_e32 v46, v7, v17
	v_fmac_f16_e32 v23, 0x34f2, v1
	v_fmac_f16_e32 v21, 0x34f2, v1
	v_fmamk_f16 v1, v55, 0x3b9c, v20
	v_fmac_f16_e32 v20, 0xbb9c, v55
	v_add_f16_e32 v41, v41, v17
	v_sub_f16_e32 v47, v10, v14
	v_sub_f16_e32 v51, v12, v15
	v_fmac_f16_e32 v1, 0xb8b4, v54
	v_fmac_f16_e32 v20, 0x38b4, v54
	s_delay_alu instid0(VALU_DEP_2) | instskip(NEXT) | instid1(VALU_DEP_2)
	v_fmac_f16_e32 v1, 0x34f2, v33
	v_fmac_f16_e32 v20, 0x34f2, v33
	v_mul_f16_e32 v33, 0xbb9c, v23
	v_mul_f16_e32 v23, 0x34f2, v23
	s_delay_alu instid0(VALU_DEP_2) | instskip(NEXT) | instid1(VALU_DEP_2)
	v_fmac_f16_e32 v33, 0x34f2, v1
	v_fmac_f16_e32 v23, 0x3b9c, v1
	v_mul_f16_e32 v1, 0xbb9c, v21
	v_mul_f16_e32 v21, 0xb4f2, v21
	s_delay_alu instid0(VALU_DEP_3) | instskip(NEXT) | instid1(VALU_DEP_3)
	v_add_f16_e32 v37, v36, v23
	v_fmac_f16_e32 v1, 0xb4f2, v20
	s_delay_alu instid0(VALU_DEP_3) | instskip(SKIP_3) | instid1(VALU_DEP_4)
	v_fmac_f16_e32 v21, 0x3b9c, v20
	v_add_f16_e32 v20, v38, v33
	v_sub_f16_e32 v33, v38, v33
	v_sub_f16_e32 v23, v36, v23
	v_add_f16_e32 v39, v58, v21
	s_delay_alu instid0(VALU_DEP_4)
	v_pack_b32_f16 v20, v20, v37
	v_add_f16_e32 v37, v2, v1
	v_sub_f16_e32 v1, v2, v1
	v_sub_f16_e32 v2, v63, v3
	;; [unrolled: 1-line block ×3, first 2 shown]
	v_pack_b32_f16 v23, v33, v23
	scratch_load_b32 v33, off, off offset:304 th:TH_LOAD_LU ; 4-byte Folded Reload
	v_pack_b32_f16 v37, v37, v39
	v_pack_b32_f16 v1, v1, v3
	scratch_load_b32 v3, off, off offset:308 th:TH_LOAD_LU ; 4-byte Folded Reload
	ds_store_2addr_b32 v225, v20, v37 offset0:150 offset1:225
	v_mul_f16_e32 v20, 0xba79, v50
	v_sub_f16_e32 v50, v8, v22
	s_delay_alu instid0(VALU_DEP_2) | instskip(SKIP_1) | instid1(VALU_DEP_2)
	v_fmac_f16_e32 v20, 0x38b4, v49
	v_add_f16_e32 v49, v10, v14
	v_add_f16_e32 v37, v79, v20
	v_sub_f16_e32 v20, v79, v20
	s_delay_alu instid0(VALU_DEP_3) | instskip(NEXT) | instid1(VALU_DEP_3)
	v_fma_f16 v49, -0.5, v49, v40
	v_pack_b32_f16 v35, v35, v37
	s_delay_alu instid0(VALU_DEP_3) | instskip(SKIP_4) | instid1(VALU_DEP_2)
	v_pack_b32_f16 v2, v2, v20
	v_sub_f16_e32 v20, v17, v14
	v_sub_f16_e32 v37, v18, v19
	v_fmamk_f16 v52, v50, 0x3b9c, v49
	v_fmac_f16_e32 v49, 0xbb9c, v50
	v_fmac_f16_e32 v52, 0x38b4, v51
	s_delay_alu instid0(VALU_DEP_2) | instskip(SKIP_4) | instid1(VALU_DEP_1)
	v_fmac_f16_e32 v49, 0xb8b4, v51
	s_wait_loadcnt 0x2
	ds_store_2addr_b32 v34, v35, v32 offset0:44 offset1:119
	v_sub_f16_e32 v32, v78, v57
	v_sub_f16_e32 v34, v86, v53
	v_pack_b32_f16 v32, v32, v34
	v_sub_f16_e32 v34, v13, v16
	s_wait_loadcnt 0x1
	ds_store_2addr_b32 v33, v32, v23 offset0:66 offset1:141
	v_add_f16_e32 v32, v18, v19
	s_wait_loadcnt 0x0
	ds_store_2addr_b32 v3, v1, v2 offset0:88 offset1:163
	v_lshrrev_b32_e32 v1, 16, v4
	v_lshrrev_b32_e32 v3, 16, v187
	v_fma_f16 v32, -0.5, v32, v6
	s_delay_alu instid0(VALU_DEP_2) | instskip(SKIP_1) | instid1(VALU_DEP_2)
	v_mul_f16_e32 v2, v3, v1
	v_mul_f16_e32 v3, v3, v4
	v_fmac_f16_e64 v2, v187, v4
	s_delay_alu instid0(VALU_DEP_2) | instskip(SKIP_2) | instid1(VALU_DEP_4)
	v_fma_f16 v1, v187, v1, -v3
	v_sub_f16_e32 v3, v8, v12
	v_sub_f16_e32 v4, v22, v15
	;; [unrolled: 1-line block ×3, first 2 shown]
	s_delay_alu instid0(VALU_DEP_4) | instskip(SKIP_1) | instid1(VALU_DEP_4)
	v_sub_f16_e32 v23, v1, v19
	v_sub_f16_e32 v33, v9, v2
	v_add_f16_e32 v3, v3, v4
	v_sub_f16_e32 v4, v7, v10
	v_sub_f16_e32 v36, v11, v1
	v_add_f16_e32 v42, v42, v2
	v_fmamk_f16 v35, v33, 0x3b9c, v32
	v_add_f16_e32 v43, v43, v1
	v_add_f16_e32 v4, v4, v20
	v_sub_f16_e32 v20, v9, v13
	v_fmac_f16_e32 v32, 0xbb9c, v33
	v_fmac_f16_e32 v35, 0x38b4, v34
	v_add_f16_e32 v45, v41, v43
	v_fmac_f16_e32 v52, 0x34f2, v4
	v_add_f16_e32 v20, v20, v21
	v_sub_f16_e32 v21, v11, v18
	v_fmac_f16_e32 v32, 0xb8b4, v34
	v_fmac_f16_e32 v49, 0x34f2, v4
	s_delay_alu instid0(VALU_DEP_3)
	v_add_f16_e32 v21, v21, v23
	v_add_f16_e32 v23, v13, v16
	v_sub_f16_e32 v13, v13, v9
	v_add_f16_e32 v9, v9, v2
	v_sub_f16_e32 v2, v16, v2
	v_fmac_f16_e32 v35, 0x34f2, v21
	v_fma_f16 v23, -0.5, v23, v5
	v_fmac_f16_e32 v32, 0x34f2, v21
	v_fmac_f16_e32 v5, -0.5, v9
	v_add_f16_e32 v9, v7, v17
	v_mul_f16_e32 v39, 0xb8b4, v35
	v_fmamk_f16 v38, v36, 0xbb9c, v23
	v_mul_f16_e32 v35, 0x3a79, v35
	v_sub_f16_e32 v7, v10, v7
	v_fmac_f16_e32 v40, -0.5, v9
	v_sub_f16_e32 v9, v14, v17
	v_fmac_f16_e32 v38, 0xb8b4, v37
	v_add_f16_e32 v2, v13, v2
	v_fmac_f16_e32 v23, 0x3b9c, v36
	v_mul_f16_e32 v4, 0xba79, v32
	v_add_f16_e32 v7, v7, v9
	v_fmac_f16_e32 v38, 0x34f2, v20
	s_delay_alu instid0(VALU_DEP_4) | instskip(NEXT) | instid1(VALU_DEP_2)
	v_fmac_f16_e32 v23, 0x38b4, v37
	v_fmac_f16_e32 v39, 0x3a79, v38
	;; [unrolled: 1-line block ×3, first 2 shown]
	v_add_f16_e32 v38, v0, v8
	s_delay_alu instid0(VALU_DEP_4) | instskip(NEXT) | instid1(VALU_DEP_3)
	v_fmac_f16_e32 v23, 0x34f2, v20
	v_add_f16_e32 v54, v52, v35
	s_delay_alu instid0(VALU_DEP_3) | instskip(NEXT) | instid1(VALU_DEP_3)
	v_add_f16_e32 v38, v38, v12
	v_fmac_f16_e32 v4, 0x38b4, v23
	s_delay_alu instid0(VALU_DEP_2) | instskip(NEXT) | instid1(VALU_DEP_1)
	v_add_f16_e32 v38, v38, v15
	v_add_f16_e32 v38, v38, v22
	s_delay_alu instid0(VALU_DEP_1) | instskip(NEXT) | instid1(VALU_DEP_1)
	v_add_f16_e32 v44, v38, v42
	v_pack_b32_f16 v44, v44, v45
	v_add_f16_e32 v45, v12, v15
	s_delay_alu instid0(VALU_DEP_1) | instskip(NEXT) | instid1(VALU_DEP_1)
	v_fma_f16 v45, -0.5, v45, v0
	v_fmamk_f16 v48, v46, 0xbb9c, v45
	v_fmac_f16_e32 v45, 0x3b9c, v46
	s_delay_alu instid0(VALU_DEP_2) | instskip(NEXT) | instid1(VALU_DEP_2)
	v_fmac_f16_e32 v48, 0xb8b4, v47
	v_fmac_f16_e32 v45, 0x38b4, v47
	s_delay_alu instid0(VALU_DEP_2) | instskip(NEXT) | instid1(VALU_DEP_2)
	v_fmac_f16_e32 v48, 0x34f2, v3
	v_fmac_f16_e32 v45, 0x34f2, v3
	v_mul_f16_e32 v3, 0xb8b4, v32
	s_delay_alu instid0(VALU_DEP_3) | instskip(NEXT) | instid1(VALU_DEP_2)
	v_add_f16_e32 v53, v48, v39
	v_fmac_f16_e32 v3, 0xba79, v23
	s_delay_alu instid0(VALU_DEP_2)
	v_pack_b32_f16 v53, v53, v54
	ds_store_2addr_b32 v215, v44, v53 offset1:75
	v_add_f16_e32 v44, v8, v22
	v_sub_f16_e32 v8, v12, v8
	v_sub_f16_e32 v12, v15, v22
	;; [unrolled: 1-line block ×3, first 2 shown]
	v_add_f16_e32 v11, v11, v1
	v_fmac_f16_e32 v0, -0.5, v44
	v_sub_f16_e32 v1, v19, v1
	v_add_f16_e32 v8, v8, v12
	v_add_f16_e32 v12, v49, v4
	v_fmac_f16_e32 v6, -0.5, v11
	v_fmamk_f16 v10, v47, 0x3b9c, v0
	v_fmac_f16_e32 v0, 0xbb9c, v47
	v_add_f16_e32 v1, v15, v1
	s_delay_alu instid0(VALU_DEP_3) | instskip(NEXT) | instid1(VALU_DEP_3)
	v_fmac_f16_e32 v10, 0xb8b4, v46
	v_fmac_f16_e32 v0, 0x38b4, v46
	s_delay_alu instid0(VALU_DEP_2) | instskip(NEXT) | instid1(VALU_DEP_2)
	v_fmac_f16_e32 v10, 0x34f2, v8
	v_fmac_f16_e32 v0, 0x34f2, v8
	v_fmamk_f16 v8, v51, 0xbb9c, v40
	v_fmac_f16_e32 v40, 0x3b9c, v51
	s_delay_alu instid0(VALU_DEP_2) | instskip(NEXT) | instid1(VALU_DEP_2)
	v_fmac_f16_e32 v8, 0x38b4, v50
	v_fmac_f16_e32 v40, 0xb8b4, v50
	s_delay_alu instid0(VALU_DEP_2) | instskip(NEXT) | instid1(VALU_DEP_2)
	v_fmac_f16_e32 v8, 0x34f2, v7
	v_fmac_f16_e32 v40, 0x34f2, v7
	v_fmamk_f16 v7, v34, 0xbb9c, v6
	v_fmac_f16_e32 v6, 0x3b9c, v34
	s_delay_alu instid0(VALU_DEP_2) | instskip(NEXT) | instid1(VALU_DEP_2)
	;; [unrolled: 8-line block ×3, first 2 shown]
	v_fmac_f16_e32 v1, 0xb8b4, v36
	v_fmac_f16_e32 v5, 0x38b4, v36
	s_delay_alu instid0(VALU_DEP_2) | instskip(NEXT) | instid1(VALU_DEP_2)
	v_fmac_f16_e32 v1, 0x34f2, v2
	v_fmac_f16_e32 v5, 0x34f2, v2
	v_mul_f16_e32 v2, 0xbb9c, v7
	v_mul_f16_e32 v7, 0x34f2, v7
	s_delay_alu instid0(VALU_DEP_2) | instskip(NEXT) | instid1(VALU_DEP_2)
	v_fmac_f16_e32 v2, 0x34f2, v1
	v_fmac_f16_e32 v7, 0x3b9c, v1
	v_mul_f16_e32 v1, 0xbb9c, v6
	v_mul_f16_e32 v6, 0xb4f2, v6
	s_delay_alu instid0(VALU_DEP_3) | instskip(NEXT) | instid1(VALU_DEP_3)
	v_add_f16_e32 v9, v8, v7
	v_fmac_f16_e32 v1, 0xb4f2, v5
	s_delay_alu instid0(VALU_DEP_3) | instskip(SKIP_3) | instid1(VALU_DEP_4)
	v_fmac_f16_e32 v6, 0x3b9c, v5
	v_add_f16_e32 v5, v10, v2
	v_sub_f16_e32 v2, v10, v2
	v_sub_f16_e32 v7, v8, v7
	v_add_f16_e32 v11, v40, v6
	s_delay_alu instid0(VALU_DEP_4) | instskip(SKIP_1) | instid1(VALU_DEP_4)
	v_pack_b32_f16 v5, v5, v9
	v_add_f16_e32 v9, v0, v1
	v_pack_b32_f16 v2, v2, v7
	scratch_load_b32 v7, off, off offset:292 th:TH_LOAD_LU ; 4-byte Folded Reload
	v_sub_f16_e32 v0, v0, v1
	v_sub_f16_e32 v1, v45, v3
	v_pack_b32_f16 v9, v9, v11
	v_add_f16_e32 v11, v45, v3
	v_sub_f16_e32 v3, v49, v4
	ds_store_2addr_b32 v215, v5, v9 offset0:150 offset1:225
	v_sub_f16_e32 v5, v38, v42
	v_sub_f16_e32 v9, v41, v43
	v_pack_b32_f16 v11, v11, v12
	v_pack_b32_f16 v1, v1, v3
	s_delay_alu instid0(VALU_DEP_3)
	v_pack_b32_f16 v5, v5, v9
	scratch_load_b32 v9, off, off offset:288 th:TH_LOAD_LU ; 4-byte Folded Reload
	s_wait_loadcnt 0x0
	ds_store_2addr_b32 v9, v11, v5 offset0:44 offset1:119
	v_sub_f16_e32 v5, v48, v39
	v_sub_f16_e32 v9, v52, v35
	s_delay_alu instid0(VALU_DEP_1) | instskip(SKIP_2) | instid1(VALU_DEP_1)
	v_pack_b32_f16 v5, v5, v9
	ds_store_2addr_b32 v7, v5, v2 offset0:66 offset1:141
	v_sub_f16_e32 v2, v40, v6
	v_pack_b32_f16 v0, v0, v2
	scratch_load_b32 v2, off, off offset:296 th:TH_LOAD_LU ; 4-byte Folded Reload
	s_wait_loadcnt 0x0
	ds_store_2addr_b32 v2, v0, v1 offset0:88 offset1:163
	global_wb scope:SCOPE_SE
	s_wait_dscnt 0x0
	s_barrier_signal -1
	s_barrier_wait -1
	global_inv scope:SCOPE_SE
	ds_load_2addr_b32 v[0:1], v112 offset0:110 offset1:235
	ds_load_2addr_b32 v[15:16], v250 offset0:62 offset1:187
	;; [unrolled: 1-line block ×3, first 2 shown]
	s_wait_dscnt 0x2
	v_lshrrev_b32_e32 v2, 16, v0
	v_mul_f16_e64 v3, v226, v0
	s_wait_dscnt 0x1
	v_mul_f16_e32 v19, v115, v16
	s_wait_dscnt 0x0
	v_lshrrev_b32_e32 v44, 16, v18
	v_mul_f16_e64 v45, v182, v18
	v_mul_f16_e64 v47, v226, v2
	v_fma_f16 v48, v28, v2, -v3
	ds_load_2addr_b32 v[2:3], v113 offset0:92 offset1:217
	v_fmac_f16_e32 v47, v28, v0
	v_lshrrev_b32_e32 v0, 16, v1
	s_wait_dscnt 0x0
	v_lshrrev_b32_e32 v4, 16, v2
	v_mul_f16_e64 v5, v234, v2
	s_delay_alu instid0(VALU_DEP_2) | instskip(NEXT) | instid1(VALU_DEP_2)
	v_mul_f16_e64 v49, v234, v4
	v_fma_f16 v50, v29, v4, -v5
	ds_load_2addr_b32 v[4:5], v185 offset0:74 offset1:199
	v_fmac_f16_e32 v49, v29, v2
	v_lshrrev_b32_e32 v2, 16, v24
	s_delay_alu instid0(VALU_DEP_1) | instskip(NEXT) | instid1(VALU_DEP_1)
	v_mul_f16_e32 v28, v2, v0
	v_fmac_f16_e32 v28, v24, v1
	v_mul_f16_e32 v1, v2, v1
	v_lshrrev_b32_e32 v2, 16, v3
	s_wait_dscnt 0x0
	v_lshrrev_b32_e32 v6, 16, v4
	v_mul_f16_e64 v7, v135, v4
	v_fma_f16 v40, v24, v0, -v1
	ds_load_2addr_b32 v[0:1], v224 offset0:104 offset1:229
	v_mul_f16_e64 v36, v219, v2
	v_mul_f16_e64 v51, v135, v6
	v_fma_f16 v52, v30, v6, -v7
	ds_load_2addr_b32 v[6:7], v130 offset0:56 offset1:181
	v_fmac_f16_e32 v36, v25, v3
	v_fmac_f16_e32 v51, v30, v4
	v_mul_f16_e64 v4, v219, v3
	v_lshrrev_b32_e32 v3, 16, v5
	v_sub_f16_e32 v46, v50, v52
	s_delay_alu instid0(VALU_DEP_3) | instskip(NEXT) | instid1(VALU_DEP_3)
	v_fma_f16 v42, v25, v2, -v4
	v_mul_f16_e64 v37, v216, v3
	s_delay_alu instid0(VALU_DEP_1)
	v_fmac_f16_e32 v37, v26, v5
	s_wait_dscnt 0x1
	v_lshrrev_b32_e32 v2, 16, v0
	s_wait_dscnt 0x0
	v_lshrrev_b32_e32 v8, 16, v6
	v_mul_f16_e32 v9, v125, v6
	s_delay_alu instid0(VALU_DEP_3) | instskip(NEXT) | instid1(VALU_DEP_3)
	v_mul_f16_e32 v21, v99, v2
	v_mul_f16_e32 v53, v125, v8
	s_delay_alu instid0(VALU_DEP_3) | instskip(SKIP_1) | instid1(VALU_DEP_4)
	v_fma_f16 v54, v31, v8, -v9
	v_mul_f16_e64 v8, v221, v7
	v_fmac_f16_e32 v21, v68, v0
	s_delay_alu instid0(VALU_DEP_4) | instskip(SKIP_3) | instid1(VALU_DEP_3)
	v_fmac_f16_e32 v53, v31, v6
	v_mul_f16_e64 v6, v216, v5
	v_lshrrev_b32_e32 v5, 16, v7
	v_sub_f16_e32 v57, v48, v54
	v_fma_f16 v41, v26, v3, -v6
	v_mul_f16_e32 v3, v99, v0
	s_delay_alu instid0(VALU_DEP_4) | instskip(SKIP_2) | instid1(VALU_DEP_4)
	v_mul_f16_e64 v38, v221, v5
	v_fma_f16 v43, v27, v5, -v8
	v_lshrrev_b32_e32 v0, 16, v1
	v_fma_f16 v39, v68, v2, -v3
	ds_load_2addr_b32 v[2:3], v245 offset0:86 offset1:211
	v_fmac_f16_e32 v38, v27, v7
	v_mul_f16_e32 v20, v110, v0
	s_delay_alu instid0(VALU_DEP_1) | instskip(SKIP_3) | instid1(VALU_DEP_2)
	v_fmac_f16_e32 v20, v64, v1
	s_wait_dscnt 0x0
	v_lshrrev_b32_e32 v4, 16, v2
	v_mul_f16_e64 v5, v241, v2
	v_mul_f16_e64 v24, v241, v4
	s_delay_alu instid0(VALU_DEP_2) | instskip(SKIP_4) | instid1(VALU_DEP_2)
	v_fma_f16 v26, v69, v4, -v5
	ds_load_2addr_b32 v[4:5], v243 offset0:68 offset1:193
	v_fmac_f16_e32 v24, v69, v2
	v_mul_f16_e32 v2, v110, v1
	v_lshrrev_b32_e32 v1, 16, v3
	v_fma_f16 v30, v64, v0, -v2
	s_delay_alu instid0(VALU_DEP_2) | instskip(NEXT) | instid1(VALU_DEP_1)
	v_mul_f16_e32 v22, v107, v1
	v_fmac_f16_e32 v22, v65, v3
	s_wait_dscnt 0x0
	v_lshrrev_b32_e32 v6, 16, v4
	v_mul_f16_e64 v7, v240, v4
	s_delay_alu instid0(VALU_DEP_2) | instskip(NEXT) | instid1(VALU_DEP_2)
	v_mul_f16_e64 v27, v240, v6
	v_fma_f16 v29, v70, v6, -v7
	ds_load_2addr_b32 v[6:7], v244 offset0:50 offset1:175
	v_fmac_f16_e32 v27, v70, v4
	v_mul_f16_e32 v4, v107, v3
	v_lshrrev_b32_e32 v3, 16, v5
	v_add_f16_e32 v62, v26, v29
	v_sub_f16_e32 v60, v26, v29
	s_delay_alu instid0(VALU_DEP_4) | instskip(SKIP_3) | instid1(VALU_DEP_2)
	v_fma_f16 v31, v65, v1, -v4
	ds_load_2addr_b32 v[0:1], v174 offset0:98 offset1:223
	v_mul_f16_e32 v23, v108, v3
	v_sub_f16_e32 v65, v24, v27
	v_fmac_f16_e32 v23, v66, v5
	v_mul_f16_e32 v5, v108, v5
	s_wait_dscnt 0x1
	v_lshrrev_b32_e32 v8, 16, v6
	v_mul_f16_e64 v9, v237, v6
	s_delay_alu instid0(VALU_DEP_3) | instskip(NEXT) | instid1(VALU_DEP_3)
	v_fma_f16 v32, v66, v3, -v5
	v_mul_f16_e64 v34, v237, v8
	s_delay_alu instid0(VALU_DEP_3)
	v_fma_f16 v35, v71, v8, -v9
	v_mul_f16_e32 v8, v109, v7
	v_mul_f16_e64 v9, v184, v15
	s_wait_dscnt 0x0
	v_lshrrev_b32_e32 v2, 16, v0
	v_mul_f16_e64 v3, v132, v0
	v_fmac_f16_e32 v34, v71, v6
	v_lshrrev_b32_e32 v6, 16, v7
	v_sub_f16_e32 v58, v39, v35
	v_mul_f16_e64 v5, v132, v2
	v_fma_f16 v4, v80, v2, -v3
	ds_load_2addr_b32 v[2:3], v142 offset0:80 offset1:205
	v_mul_f16_e32 v25, v109, v6
	v_fma_f16 v33, v67, v6, -v8
	v_fmac_f16_e32 v5, v80, v0
	v_lshrrev_b32_e32 v0, 16, v1
	v_sub_f16_e32 v63, v21, v34
	v_fmac_f16_e32 v25, v67, v7
	s_wait_dscnt 0x0
	v_lshrrev_b32_e32 v7, 16, v2
	v_mul_f16_e64 v8, v188, v2
	s_delay_alu instid0(VALU_DEP_2) | instskip(NEXT) | instid1(VALU_DEP_2)
	v_mul_f16_e64 v6, v188, v7
	v_fma_f16 v8, v81, v7, -v8
	v_lshrrev_b32_e32 v7, 16, v15
	s_delay_alu instid0(VALU_DEP_3) | instskip(SKIP_1) | instid1(VALU_DEP_3)
	v_fmac_f16_e32 v6, v81, v2
	v_mul_f16_e64 v2, v191, v1
	v_mul_f16_e64 v11, v184, v7
	v_fma_f16 v10, v82, v7, -v9
	v_lshrrev_b32_e32 v7, 16, v17
	v_mul_f16_e32 v9, v126, v17
	s_delay_alu instid0(VALU_DEP_4) | instskip(SKIP_1) | instid1(VALU_DEP_4)
	v_fmac_f16_e32 v11, v82, v15
	v_mul_f16_e64 v15, v182, v44
	v_mul_f16_e32 v12, v126, v7
	s_delay_alu instid0(VALU_DEP_4) | instskip(SKIP_1) | instid1(VALU_DEP_4)
	v_fma_f16 v14, v83, v7, -v9
	v_mul_f16_e64 v7, v191, v0
	v_fmac_f16_e32 v15, v75, v18
	s_delay_alu instid0(VALU_DEP_4) | instskip(SKIP_1) | instid1(VALU_DEP_4)
	v_fmac_f16_e32 v12, v83, v17
	v_mul_f16_e64 v17, v133, v3
	v_fmac_f16_e32 v7, v72, v1
	v_lshrrev_b32_e32 v1, 16, v3
	s_delay_alu instid0(VALU_DEP_1) | instskip(NEXT) | instid1(VALU_DEP_4)
	v_mul_f16_e64 v9, v133, v1
	v_fma_f16 v17, v73, v1, -v17
	v_sub_f16_e32 v1, v53, v51
	s_delay_alu instid0(VALU_DEP_3) | instskip(SKIP_1) | instid1(VALU_DEP_1)
	v_fmac_f16_e32 v9, v73, v3
	v_lshrrev_b32_e32 v3, 16, v16
	v_mul_f16_e32 v13, v115, v3
	v_fma_f16 v18, v74, v3, -v19
	v_add_f16_e32 v3, v47, v53
	v_fma_f16 v19, v75, v44, -v45
	s_delay_alu instid0(VALU_DEP_4) | instskip(SKIP_3) | instid1(VALU_DEP_2)
	v_fmac_f16_e32 v13, v74, v16
	v_fma_f16 v16, v72, v0, -v2
	v_sub_f16_e32 v0, v47, v49
	v_add_f16_e32 v2, v49, v51
	v_add_f16_e32 v55, v0, v1
	v_sub_f16_e32 v0, v49, v47
	v_sub_f16_e32 v1, v51, v53
	s_delay_alu instid0(VALU_DEP_1) | instskip(SKIP_4) | instid1(VALU_DEP_2)
	v_add_f16_e32 v56, v0, v1
	ds_load_2addr_b32 v[0:1], v165 offset1:125
	s_wait_dscnt 0x0
	v_fma_f16 v2, -0.5, v2, v0
	v_fma_f16 v3, -0.5, v3, v0
	v_fmamk_f16 v44, v57, 0xbb9c, v2
	v_fmac_f16_e32 v2, 0x3b9c, v57
	s_delay_alu instid0(VALU_DEP_3) | instskip(SKIP_1) | instid1(VALU_DEP_4)
	v_fmamk_f16 v45, v46, 0x3b9c, v3
	v_fmac_f16_e32 v3, 0xbb9c, v46
	v_fmac_f16_e32 v44, 0xb8b4, v46
	s_delay_alu instid0(VALU_DEP_4) | instskip(SKIP_1) | instid1(VALU_DEP_4)
	v_fmac_f16_e32 v2, 0x38b4, v46
	v_add_f16_e32 v46, v0, v47
	v_fmac_f16_e32 v3, 0x38b4, v57
	v_fmac_f16_e32 v45, 0xb8b4, v57
	;; [unrolled: 1-line block ×4, first 2 shown]
	v_add_f16_e32 v46, v46, v49
	v_fmac_f16_e32 v3, 0x34f2, v56
	v_fmac_f16_e32 v45, 0x34f2, v56
	v_sub_f16_e32 v57, v36, v37
	s_delay_alu instid0(VALU_DEP_4) | instskip(SKIP_2) | instid1(VALU_DEP_3)
	v_add_f16_e32 v46, v46, v51
	v_sub_f16_e32 v51, v49, v51
	v_add_f16_e32 v49, v48, v54
	v_add_f16_e32 v46, v46, v53
	v_sub_f16_e32 v53, v47, v53
	v_lshrrev_b32_e32 v47, 16, v0
	v_add_f16_e32 v0, v50, v52
	s_delay_alu instid0(VALU_DEP_2) | instskip(NEXT) | instid1(VALU_DEP_2)
	v_add_f16_e32 v55, v47, v48
	v_fma_f16 v0, -0.5, v0, v47
	v_fmac_f16_e32 v47, -0.5, v49
	s_delay_alu instid0(VALU_DEP_3) | instskip(SKIP_2) | instid1(VALU_DEP_3)
	v_add_f16_e32 v49, v55, v50
	v_sub_f16_e32 v55, v48, v50
	v_sub_f16_e32 v50, v50, v48
	v_add_f16_e32 v48, v49, v52
	v_sub_f16_e32 v49, v54, v52
	v_sub_f16_e32 v52, v52, v54
	s_delay_alu instid0(VALU_DEP_3) | instskip(NEXT) | instid1(VALU_DEP_3)
	v_add_f16_e32 v48, v48, v54
	v_add_f16_e32 v54, v55, v49
	s_delay_alu instid0(VALU_DEP_3)
	v_add_f16_e32 v52, v50, v52
	v_fmamk_f16 v50, v53, 0x3b9c, v0
	v_fmamk_f16 v49, v51, 0xbb9c, v47
	v_fmac_f16_e32 v47, 0x3b9c, v51
	v_fmac_f16_e32 v0, 0xbb9c, v53
	v_pack_b32_f16 v46, v46, v48
	v_fmac_f16_e32 v50, 0x38b4, v51
	v_fmac_f16_e32 v49, 0x38b4, v53
	;; [unrolled: 1-line block ×4, first 2 shown]
	v_sub_f16_e32 v53, v42, v41
	v_fmac_f16_e32 v50, 0x34f2, v54
	v_fmac_f16_e32 v49, 0x34f2, v52
	;; [unrolled: 1-line block ×4, first 2 shown]
	v_add_f16_e32 v54, v42, v41
	v_pack_b32_f16 v48, v44, v50
	v_lshrrev_b32_e32 v50, 16, v1
	v_pack_b32_f16 v47, v3, v47
	v_pack_b32_f16 v0, v2, v0
	v_add_f16_e32 v2, v1, v28
	v_pack_b32_f16 v49, v45, v49
	v_add_f16_e32 v3, v50, v40
	v_sub_f16_e32 v55, v28, v38
	v_fma_f16 v54, -0.5, v54, v50
	v_add_f16_e32 v2, v2, v36
	s_delay_alu instid0(VALU_DEP_4) | instskip(NEXT) | instid1(VALU_DEP_3)
	v_add_f16_e32 v3, v3, v42
	v_fmamk_f16 v56, v55, 0x3b9c, v54
	s_delay_alu instid0(VALU_DEP_3) | instskip(SKIP_1) | instid1(VALU_DEP_4)
	v_add_f16_e32 v2, v2, v37
	v_fmac_f16_e32 v54, 0xbb9c, v55
	v_add_f16_e32 v3, v3, v41
	s_delay_alu instid0(VALU_DEP_4) | instskip(NEXT) | instid1(VALU_DEP_4)
	v_fmac_f16_e32 v56, 0x38b4, v57
	v_add_f16_e32 v2, v2, v38
	s_delay_alu instid0(VALU_DEP_4) | instskip(NEXT) | instid1(VALU_DEP_4)
	v_fmac_f16_e32 v54, 0xb8b4, v57
	v_add_f16_e32 v3, v3, v43
	s_delay_alu instid0(VALU_DEP_1)
	v_pack_b32_f16 v51, v2, v3
	ds_load_2addr_b32 v[44:45], v156 offset0:122 offset1:247
	ds_load_2addr_b32 v[2:3], v144 offset0:116 offset1:241
	ds_store_b32 v165, v48 offset:3000
	ds_store_b32 v165, v49 offset:6000
	;; [unrolled: 1-line block ×4, first 2 shown]
	ds_store_2addr_b32 v165, v46, v51 offset1:125
	v_sub_f16_e32 v0, v28, v36
	v_sub_f16_e32 v46, v38, v37
	v_sub_f16_e32 v47, v43, v41
	v_sub_f16_e32 v48, v34, v27
	v_sub_f16_e32 v49, v35, v29
	v_sub_f16_e32 v41, v41, v43
	v_add_f16_e32 v0, v0, v46
	v_sub_f16_e32 v46, v40, v42
	v_sub_f16_e32 v51, v40, v43
	s_delay_alu instid0(VALU_DEP_2) | instskip(SKIP_3) | instid1(VALU_DEP_2)
	v_add_f16_e32 v46, v46, v47
	v_sub_f16_e32 v47, v21, v24
	s_wait_dscnt 0x6
	v_lshrrev_b32_e32 v61, 16, v44
	v_add_f16_e32 v47, v47, v48
	v_sub_f16_e32 v48, v39, v26
	v_fmac_f16_e32 v56, 0x34f2, v46
	v_fmac_f16_e32 v54, 0x34f2, v46
	v_fma_f16 v62, -0.5, v62, v61
	s_delay_alu instid0(VALU_DEP_4)
	v_add_f16_e32 v48, v48, v49
	v_add_f16_e32 v49, v36, v37
	v_sub_f16_e32 v36, v36, v28
	v_add_f16_e32 v28, v28, v38
	v_sub_f16_e32 v37, v37, v38
	v_sub_f16_e32 v38, v42, v40
	v_fma_f16 v49, -0.5, v49, v1
	v_add_f16_e32 v40, v40, v43
	v_fmac_f16_e32 v1, -0.5, v28
	v_add_f16_e32 v28, v36, v37
	v_add_f16_e32 v36, v38, v41
	v_sub_f16_e32 v37, v24, v21
	v_sub_f16_e32 v38, v27, v34
	v_fmac_f16_e32 v50, -0.5, v40
	v_add_f16_e32 v40, v61, v39
	v_fmamk_f16 v52, v51, 0xbb9c, v49
	v_fmamk_f16 v64, v63, 0x3b9c, v62
	v_add_f16_e32 v37, v37, v38
	v_add_f16_e32 v38, v39, v35
	v_fmamk_f16 v41, v57, 0xbb9c, v50
	v_fmac_f16_e32 v52, 0xb8b4, v53
	v_fmac_f16_e32 v50, 0x3b9c, v57
	;; [unrolled: 1-line block ×3, first 2 shown]
	v_fmac_f16_e32 v61, -0.5, v38
	v_sub_f16_e32 v38, v26, v39
	v_sub_f16_e32 v39, v29, v35
	v_fmac_f16_e32 v41, 0x38b4, v55
	v_fmac_f16_e32 v52, 0x34f2, v0
	v_fmamk_f16 v43, v65, 0xbb9c, v61
	v_fmac_f16_e32 v61, 0x3b9c, v65
	v_add_f16_e32 v38, v38, v39
	v_fmamk_f16 v39, v53, 0x3b9c, v1
	v_fmac_f16_e32 v41, 0x34f2, v36
	v_pack_b32_f16 v52, v52, v56
	v_add_f16_e32 v56, v24, v27
	v_fmac_f16_e32 v1, 0xbb9c, v53
	v_fmac_f16_e32 v39, 0xb8b4, v51
	;; [unrolled: 1-line block ×4, first 2 shown]
	v_fma_f16 v56, -0.5, v56, v44
	v_fmac_f16_e32 v1, 0x38b4, v51
	v_fmac_f16_e32 v39, 0x34f2, v28
	;; [unrolled: 1-line block ×4, first 2 shown]
	v_fmamk_f16 v59, v58, 0xbb9c, v56
	v_fmac_f16_e32 v56, 0x3b9c, v58
	v_pack_b32_f16 v39, v39, v41
	v_add_f16_e32 v41, v21, v34
	v_fmac_f16_e32 v1, 0x34f2, v28
	v_fmac_f16_e32 v61, 0x34f2, v38
	;; [unrolled: 1-line block ×4, first 2 shown]
	v_fma_f16 v41, -0.5, v41, v44
	v_fmac_f16_e32 v62, 0xb8b4, v65
	v_pack_b32_f16 v1, v1, v50
	v_add_nc_u32_e32 v36, 0x2400, v165
	v_fmac_f16_e32 v49, 0x34f2, v0
	v_fmamk_f16 v42, v60, 0x3b9c, v41
	v_fmac_f16_e32 v41, 0xbb9c, v60
	v_fmac_f16_e32 v56, 0x34f2, v47
	;; [unrolled: 1-line block ×3, first 2 shown]
	v_pack_b32_f16 v0, v49, v54
	v_fmac_f16_e32 v59, 0xb8b4, v60
	v_fmac_f16_e32 v41, 0x38b4, v58
	v_fmac_f16_e32 v64, 0x38b4, v65
	v_fmac_f16_e32 v42, 0xb8b4, v58
	v_fmac_f16_e32 v43, 0x38b4, v63
	v_fmac_f16_e32 v59, 0x34f2, v47
	v_fmac_f16_e32 v41, 0x34f2, v37
	v_fmac_f16_e32 v64, 0x34f2, v48
	v_fmac_f16_e32 v42, 0x34f2, v37
	v_fmac_f16_e32 v43, 0x34f2, v38
	v_sub_f16_e32 v38, v16, v19
	v_pack_b32_f16 v28, v41, v61
	v_pack_b32_f16 v59, v59, v64
	v_add_nc_u32_e32 v64, 0xc00, v165
	v_pack_b32_f16 v42, v42, v43
	v_add_nc_u32_e32 v43, 0x1800, v165
	ds_store_2addr_b32 v36, v1, v28 offset0:71 offset1:196
	v_pack_b32_f16 v1, v56, v62
	v_add_nc_u32_e32 v28, 0x3000, v165
	ds_store_2addr_b32 v64, v52, v59 offset0:107 offset1:232
	ds_store_2addr_b32 v43, v39, v42 offset0:89 offset1:214
	v_sub_f16_e32 v36, v20, v25
	v_sub_f16_e32 v39, v9, v13
	ds_store_2addr_b32 v28, v0, v1 offset0:53 offset1:178
	v_add_f16_e32 v0, v44, v21
	v_add_f16_e32 v1, v40, v26
	v_lshrrev_b32_e32 v21, 16, v45
	v_add_f16_e32 v26, v30, v33
	v_sub_f16_e32 v41, v7, v15
	v_add_f16_e32 v0, v0, v24
	v_add_f16_e32 v1, v1, v29
	;; [unrolled: 1-line block ×3, first 2 shown]
	v_sub_f16_e32 v29, v30, v33
	v_add_f16_e32 v42, v5, v12
	v_add_f16_e32 v0, v0, v27
	;; [unrolled: 1-line block ×4, first 2 shown]
	v_sub_f16_e32 v27, v32, v33
	s_wait_dscnt 0x9
	v_fma_f16 v42, -0.5, v42, v2
	v_add_f16_e32 v0, v0, v34
	v_sub_f16_e32 v34, v22, v23
	v_add_f16_e32 v24, v24, v32
	s_delay_alu instid0(VALU_DEP_3) | instskip(SKIP_1) | instid1(VALU_DEP_3)
	v_pack_b32_f16 v0, v0, v1
	v_add_f16_e32 v1, v45, v20
	v_add_f16_e32 v24, v24, v33
	s_delay_alu instid0(VALU_DEP_2) | instskip(NEXT) | instid1(VALU_DEP_1)
	v_add_f16_e32 v1, v1, v22
	v_add_f16_e32 v1, v1, v23
	s_delay_alu instid0(VALU_DEP_1) | instskip(NEXT) | instid1(VALU_DEP_1)
	v_add_f16_e32 v1, v1, v25
	v_pack_b32_f16 v1, v1, v24
	v_sub_f16_e32 v24, v23, v25
	ds_store_2addr_b32 v156, v0, v1 offset0:122 offset1:247
	v_add_f16_e32 v0, v22, v23
	v_add_f16_e32 v1, v20, v25
	s_delay_alu instid0(VALU_DEP_2) | instskip(NEXT) | instid1(VALU_DEP_2)
	v_fma_f16 v0, -0.5, v0, v45
	v_fmac_f16_e32 v45, -0.5, v1
	v_sub_f16_e32 v1, v22, v20
	v_sub_f16_e32 v20, v20, v22
	;; [unrolled: 1-line block ×3, first 2 shown]
	v_fmamk_f16 v25, v29, 0xbb9c, v0
	v_fmac_f16_e32 v0, 0x3b9c, v29
	v_add_f16_e32 v1, v1, v24
	v_add_f16_e32 v24, v31, v32
	v_add_f16_e32 v20, v20, v22
	v_sub_f16_e32 v22, v30, v31
	v_sub_f16_e32 v23, v33, v32
	v_sub_f16_e32 v33, v13, v15
	v_fma_f16 v24, -0.5, v24, v21
	v_fmac_f16_e32 v21, -0.5, v26
	v_sub_f16_e32 v26, v31, v30
	v_add_f16_e32 v22, v22, v23
	v_sub_f16_e32 v30, v5, v12
	v_fmamk_f16 v23, v36, 0x3b9c, v24
	v_fmamk_f16 v35, v34, 0xbb9c, v21
	v_add_f16_e32 v26, v26, v27
	v_sub_f16_e32 v27, v31, v32
	v_fmac_f16_e32 v21, 0x3b9c, v34
	v_fmac_f16_e32 v24, 0xbb9c, v36
	;; [unrolled: 1-line block ×4, first 2 shown]
	v_fmamk_f16 v28, v27, 0x3b9c, v45
	v_fmac_f16_e32 v45, 0xbb9c, v27
	v_fmac_f16_e32 v25, 0xb8b4, v27
	v_fmac_f16_e32 v0, 0x38b4, v27
	v_fmac_f16_e32 v21, 0xb8b4, v36
	v_fmac_f16_e32 v28, 0xb8b4, v29
	v_fmac_f16_e32 v45, 0x38b4, v29
	v_fmac_f16_e32 v25, 0x34f2, v20
	v_fmac_f16_e32 v0, 0x34f2, v20
	v_sub_f16_e32 v20, v12, v11
	v_fmac_f16_e32 v28, 0x34f2, v1
	v_fmac_f16_e32 v45, 0x34f2, v1
	v_sub_f16_e32 v1, v5, v6
	v_fmac_f16_e32 v21, 0x34f2, v26
	v_fmac_f16_e32 v24, 0xb8b4, v34
	;; [unrolled: 1-line block ×4, first 2 shown]
	v_add_f16_e32 v26, v1, v20
	v_sub_f16_e32 v1, v4, v8
	v_sub_f16_e32 v20, v14, v10
	v_fmac_f16_e32 v24, 0x34f2, v22
	v_add_f16_e32 v22, v6, v11
	v_add_f16_e32 v29, v8, v10
	v_sub_f16_e32 v32, v6, v11
	v_add_f16_e32 v27, v1, v20
	v_pack_b32_f16 v1, v28, v35
	v_lshrrev_b32_e32 v28, 16, v2
	v_pack_b32_f16 v0, v0, v24
	v_pack_b32_f16 v20, v25, v23
	v_fma_f16 v23, -0.5, v22, v2
	v_sub_f16_e32 v24, v4, v14
	v_fma_f16 v29, -0.5, v29, v28
	v_sub_f16_e32 v25, v8, v10
	v_pack_b32_f16 v21, v45, v21
	ds_store_b32 v165, v1 offset:7500
	ds_store_b32 v165, v21 offset:10500
	;; [unrolled: 1-line block ×3, first 2 shown]
	v_fmamk_f16 v22, v24, 0xbb9c, v23
	v_fmamk_f16 v31, v30, 0x3b9c, v29
	v_add_nc_u32_e32 v0, 0x1000, v165
	v_add_f16_e32 v34, v16, v19
	v_sub_f16_e32 v36, v18, v19
	v_fmac_f16_e32 v22, 0xb8b4, v25
	v_fmac_f16_e32 v31, 0x38b4, v32
	;; [unrolled: 1-line block ×4, first 2 shown]
	s_delay_alu instid0(VALU_DEP_4) | instskip(NEXT) | instid1(VALU_DEP_4)
	v_fmac_f16_e32 v22, 0x34f2, v26
	v_fmac_f16_e32 v31, 0x34f2, v27
	s_delay_alu instid0(VALU_DEP_4) | instskip(NEXT) | instid1(VALU_DEP_4)
	v_fmac_f16_e32 v23, 0x38b4, v25
	v_fmac_f16_e32 v29, 0xb8b4, v32
	s_delay_alu instid0(VALU_DEP_3) | instskip(NEXT) | instid1(VALU_DEP_3)
	v_pack_b32_f16 v22, v22, v31
	v_fmac_f16_e32 v23, 0x34f2, v26
	s_delay_alu instid0(VALU_DEP_3) | instskip(SKIP_4) | instid1(VALU_DEP_1)
	v_fmac_f16_e32 v29, 0x34f2, v27
	ds_store_2addr_b32 v0, v20, v22 offset0:101 offset1:226
	scratch_load_b64 v[20:21], off, off offset:192 th:TH_LOAD_LU ; 8-byte Folded Reload
	s_wait_loadcnt 0x0
	v_mad_co_u64_u32 v[0:1], null, s10, v20, 0
	v_mad_co_u64_u32 v[20:21], null, s11, v20, v[1:2]
	v_add_f16_e32 v2, v2, v5
	s_mov_b32 s10, 0x9cbd821e
	s_mov_b32 s11, 0x3f3179ec
	s_delay_alu instid0(VALU_DEP_1) | instskip(NEXT) | instid1(VALU_DEP_3)
	v_add_f16_e32 v2, v2, v6
	v_mov_b32_e32 v1, v20
	v_mad_co_u64_u32 v[20:21], null, s8, v164, 0
	s_delay_alu instid0(VALU_DEP_3) | instskip(NEXT) | instid1(VALU_DEP_3)
	v_add_f16_e32 v2, v2, v11
	v_lshlrev_b64_e32 v[0:1], 2, v[0:1]
	s_delay_alu instid0(VALU_DEP_3) | instskip(NEXT) | instid1(VALU_DEP_2)
	v_mad_co_u64_u32 v[21:22], null, s9, v164, v[21:22]
	v_add_co_u32 v22, vcc_lo, s0, v0
	s_wait_alu 0xfffd
	s_delay_alu instid0(VALU_DEP_3) | instskip(SKIP_2) | instid1(VALU_DEP_4)
	v_add_co_ci_u32_e32 v31, vcc_lo, s1, v1, vcc_lo
	v_add_f16_e32 v2, v2, v12
	s_mul_u64 s[8:9], s[8:9], s[12:13]
	v_lshlrev_b64_e32 v[0:1], 2, v[20:21]
	s_delay_alu instid0(VALU_DEP_1) | instskip(SKIP_1) | instid1(VALU_DEP_2)
	v_add_co_u32 v20, vcc_lo, v22, v0
	s_wait_alu 0xfffd
	v_add_co_ci_u32_e32 v21, vcc_lo, v31, v1, vcc_lo
	v_add_f16_e32 v0, v9, v13
	v_add_f16_e32 v1, v7, v15
	v_lshrrev_b32_e32 v22, 16, v3
	v_add_f16_e32 v31, v3, v7
	s_delay_alu instid0(VALU_DEP_4) | instskip(NEXT) | instid1(VALU_DEP_4)
	v_fma_f16 v0, -0.5, v0, v3
	v_fmac_f16_e32 v3, -0.5, v1
	v_sub_f16_e32 v1, v9, v7
	v_add_f16_e32 v35, v22, v16
	s_delay_alu instid0(VALU_DEP_2) | instskip(SKIP_1) | instid1(VALU_DEP_1)
	v_add_f16_e32 v1, v1, v33
	v_add_f16_e32 v33, v17, v18
	v_fma_f16 v33, -0.5, v33, v22
	v_fmac_f16_e32 v22, -0.5, v34
	v_sub_f16_e32 v34, v17, v16
	s_delay_alu instid0(VALU_DEP_2) | instskip(NEXT) | instid1(VALU_DEP_2)
	v_fmamk_f16 v40, v39, 0xbb9c, v22
	v_add_f16_e32 v34, v34, v36
	v_sub_f16_e32 v36, v17, v18
	v_fmac_f16_e32 v22, 0x3b9c, v39
	s_delay_alu instid0(VALU_DEP_4) | instskip(NEXT) | instid1(VALU_DEP_3)
	v_fmac_f16_e32 v40, 0x38b4, v41
	v_fmamk_f16 v37, v36, 0x3b9c, v3
	v_fmac_f16_e32 v3, 0xbb9c, v36
	s_delay_alu instid0(VALU_DEP_4) | instskip(NEXT) | instid1(VALU_DEP_4)
	v_fmac_f16_e32 v22, 0xb8b4, v41
	v_fmac_f16_e32 v40, 0x34f2, v34
	s_delay_alu instid0(VALU_DEP_4) | instskip(NEXT) | instid1(VALU_DEP_4)
	v_fmac_f16_e32 v37, 0xb8b4, v38
	v_fmac_f16_e32 v3, 0x38b4, v38
	s_delay_alu instid0(VALU_DEP_4) | instskip(NEXT) | instid1(VALU_DEP_3)
	v_fmac_f16_e32 v22, 0x34f2, v34
	v_fmac_f16_e32 v37, 0x34f2, v1
	s_delay_alu instid0(VALU_DEP_3) | instskip(SKIP_2) | instid1(VALU_DEP_3)
	v_fmac_f16_e32 v3, 0x34f2, v1
	v_fmamk_f16 v1, v25, 0x3b9c, v42
	v_fmac_f16_e32 v42, 0xbb9c, v25
	v_pack_b32_f16 v3, v3, v22
	v_add_f16_e32 v22, v28, v4
	s_delay_alu instid0(VALU_DEP_4) | instskip(NEXT) | instid1(VALU_DEP_4)
	v_fmac_f16_e32 v1, 0xb8b4, v24
	v_fmac_f16_e32 v42, 0x38b4, v24
	s_delay_alu instid0(VALU_DEP_3) | instskip(NEXT) | instid1(VALU_DEP_1)
	v_add_f16_e32 v22, v22, v8
	v_add_f16_e32 v22, v22, v10
	s_delay_alu instid0(VALU_DEP_1) | instskip(NEXT) | instid1(VALU_DEP_1)
	v_add_f16_e32 v22, v22, v14
	v_pack_b32_f16 v2, v2, v22
	v_add_f16_e32 v22, v31, v9
	v_add_f16_e32 v31, v35, v17
	s_delay_alu instid0(VALU_DEP_2) | instskip(NEXT) | instid1(VALU_DEP_2)
	v_add_f16_e32 v22, v22, v13
	v_add_f16_e32 v31, v31, v18
	s_delay_alu instid0(VALU_DEP_2) | instskip(NEXT) | instid1(VALU_DEP_2)
	v_add_f16_e32 v22, v22, v15
	v_add_f16_e32 v31, v31, v19
	s_delay_alu instid0(VALU_DEP_1)
	v_pack_b32_f16 v22, v22, v31
	ds_store_2addr_b32 v144, v2, v22 offset0:116 offset1:241
	v_sub_f16_e32 v2, v6, v5
	v_sub_f16_e32 v6, v8, v4
	v_add_f16_e32 v4, v4, v14
	v_sub_f16_e32 v5, v11, v12
	v_sub_f16_e32 v8, v10, v14
	s_delay_alu instid0(VALU_DEP_3) | instskip(NEXT) | instid1(VALU_DEP_3)
	v_fmac_f16_e32 v28, -0.5, v4
	v_add_f16_e32 v2, v2, v5
	s_delay_alu instid0(VALU_DEP_3)
	v_add_f16_e32 v4, v6, v8
	v_fmamk_f16 v6, v41, 0x3b9c, v33
	v_fmac_f16_e32 v33, 0xbb9c, v41
	v_fmamk_f16 v5, v32, 0xbb9c, v28
	v_fmac_f16_e32 v28, 0x3b9c, v32
	v_fmac_f16_e32 v1, 0x34f2, v2
	;; [unrolled: 1-line block ×3, first 2 shown]
	v_sub_f16_e32 v2, v15, v13
	v_fmac_f16_e32 v5, 0x38b4, v30
	v_fmac_f16_e32 v28, 0xb8b4, v30
	;; [unrolled: 1-line block ×4, first 2 shown]
	s_delay_alu instid0(VALU_DEP_4) | instskip(NEXT) | instid1(VALU_DEP_4)
	v_fmac_f16_e32 v5, 0x34f2, v4
	v_fmac_f16_e32 v28, 0x34f2, v4
	v_sub_f16_e32 v4, v19, v18
	s_delay_alu instid0(VALU_DEP_3)
	v_pack_b32_f16 v1, v1, v5
	v_pack_b32_f16 v5, v37, v40
	ds_store_2addr_b32 v142, v1, v5 offset0:80 offset1:205
	v_pack_b32_f16 v1, v42, v28
	v_fmamk_f16 v5, v38, 0xbb9c, v0
	v_fmac_f16_e32 v0, 0x3b9c, v38
	ds_store_2addr_b32 v250, v1, v3 offset0:62 offset1:187
	v_sub_f16_e32 v1, v7, v9
	v_sub_f16_e32 v3, v16, v17
	v_fmac_f16_e32 v0, 0x38b4, v36
	v_fmac_f16_e32 v5, 0xb8b4, v36
	s_delay_alu instid0(VALU_DEP_4) | instskip(NEXT) | instid1(VALU_DEP_4)
	v_add_f16_e32 v1, v1, v2
	v_add_f16_e32 v2, v3, v4
	v_pack_b32_f16 v3, v23, v29
	s_delay_alu instid0(VALU_DEP_3) | instskip(NEXT) | instid1(VALU_DEP_3)
	v_fmac_f16_e32 v0, 0x34f2, v1
	v_fmac_f16_e32 v33, 0x34f2, v2
	;; [unrolled: 1-line block ×4, first 2 shown]
	s_delay_alu instid0(VALU_DEP_3)
	v_pack_b32_f16 v0, v0, v33
	ds_store_2addr_b32 v154, v3, v0 offset0:44 offset1:169
	v_pack_b32_f16 v0, v5, v6
	ds_store_b32 v165, v0 offset:5500
	global_wb scope:SCOPE_SE
	s_wait_dscnt 0x0
	s_barrier_signal -1
	s_barrier_wait -1
	global_inv scope:SCOPE_SE
	s_clause 0x3
	scratch_load_b32 v15, off, off offset:240 th:TH_LOAD_LU
	scratch_load_b32 v16, off, off offset:244 th:TH_LOAD_LU
	;; [unrolled: 1-line block ×4, first 2 shown]
	ds_load_2addr_b32 v[4:5], v165 offset1:125
	ds_load_2addr_b32 v[11:12], v174 offset0:98 offset1:223
	s_clause 0x8
	scratch_load_b32 v23, off, off offset:216 th:TH_LOAD_LU
	scratch_load_b32 v24, off, off offset:220 th:TH_LOAD_LU
	;; [unrolled: 1-line block ×9, first 2 shown]
	s_wait_dscnt 0x1
	v_lshrrev_b32_e32 v8, 16, v4
	s_wait_dscnt 0x0
	v_lshrrev_b32_e32 v19, 16, v11
	s_wait_loadcnt 0xc
	v_mul_f16_e32 v0, v15, v4
	s_wait_loadcnt 0xb
	s_delay_alu instid0(VALU_DEP_1) | instskip(NEXT) | instid1(VALU_DEP_1)
	v_fma_f16 v0, v16, v8, -v0
	v_cvt_f32_f16_e32 v0, v0
	s_delay_alu instid0(VALU_DEP_1) | instskip(SKIP_1) | instid1(VALU_DEP_1)
	v_cvt_f64_f32_e32 v[0:1], v0
	s_wait_alu 0xfffe
	v_mul_f64_e32 v[6:7], s[10:11], v[0:1]
	s_delay_alu instid0(VALU_DEP_1) | instskip(SKIP_2) | instid1(VALU_DEP_3)
	v_and_or_b32 v0, 0x1ff, v7, v6
	v_lshrrev_b32_e32 v1, 8, v7
	v_bfe_u32 v13, v7, 20, 11
	v_cmp_ne_u32_e32 vcc_lo, 0, v0
	s_wait_alu 0xfffd
	v_cndmask_b32_e64 v0, 0, 1, vcc_lo
	s_delay_alu instid0(VALU_DEP_1) | instskip(SKIP_2) | instid1(VALU_DEP_3)
	v_and_or_b32 v6, 0xffe, v1, v0
	v_sub_nc_u32_e32 v0, 0x3f1, v13
	v_add_nc_u32_e32 v13, 0xfffffc10, v13
	v_or_b32_e32 v1, 0x1000, v6
	s_delay_alu instid0(VALU_DEP_3) | instskip(NEXT) | instid1(VALU_DEP_1)
	v_med3_i32 v0, v0, 0, 13
	v_lshrrev_b32_e32 v14, v0, v1
	s_delay_alu instid0(VALU_DEP_1) | instskip(NEXT) | instid1(VALU_DEP_1)
	v_lshlrev_b32_e32 v0, v0, v14
	v_cmp_ne_u32_e32 vcc_lo, v0, v1
	s_wait_loadcnt 0xa
	v_mul_f16_e32 v0, v25, v11
	s_wait_loadcnt 0x9
	s_delay_alu instid0(VALU_DEP_1) | instskip(SKIP_1) | instid1(VALU_DEP_2)
	v_fma_f16 v0, v26, v19, -v0
	v_mul_f16_e32 v19, v25, v19
	v_cvt_f32_f16_e32 v0, v0
	s_delay_alu instid0(VALU_DEP_2) | instskip(NEXT) | instid1(VALU_DEP_2)
	v_fmac_f16_e32 v19, v26, v11
	v_cvt_f64_f32_e32 v[0:1], v0
	s_delay_alu instid0(VALU_DEP_1) | instskip(NEXT) | instid1(VALU_DEP_1)
	v_mul_f64_e32 v[1:2], s[10:11], v[0:1]
	v_and_or_b32 v0, 0x1ff, v2, v1
	v_lshrrev_b32_e32 v1, 8, v2
	v_bfe_u32 v9, v2, 20, 11
	v_lshrrev_b32_e32 v2, 16, v2
	s_delay_alu instid0(VALU_DEP_4) | instskip(SKIP_1) | instid1(VALU_DEP_1)
	v_cmp_ne_u32_e64 s0, 0, v0
	s_wait_alu 0xf1ff
	v_cndmask_b32_e64 v0, 0, 1, s0
	s_delay_alu instid0(VALU_DEP_1) | instskip(SKIP_2) | instid1(VALU_DEP_3)
	v_and_or_b32 v3, 0xffe, v1, v0
	v_sub_nc_u32_e32 v0, 0x3f1, v9
	v_add_nc_u32_e32 v9, 0xfffffc10, v9
	v_or_b32_e32 v1, 0x1000, v3
	s_delay_alu instid0(VALU_DEP_3) | instskip(NEXT) | instid1(VALU_DEP_1)
	v_med3_i32 v0, v0, 0, 13
	v_lshrrev_b32_e32 v10, v0, v1
	s_delay_alu instid0(VALU_DEP_1) | instskip(NEXT) | instid1(VALU_DEP_1)
	v_lshlrev_b32_e32 v0, v0, v10
	v_cmp_ne_u32_e64 s0, v0, v1
	v_mul_f16_e32 v0, v15, v8
	s_clause 0x1
	scratch_load_b32 v8, off, off offset:228 th:TH_LOAD_LU
	scratch_load_b32 v15, off, off offset:224 th:TH_LOAD_LU
	v_lshrrev_b32_e32 v1, 16, v5
	v_fmac_f16_e32 v0, v16, v4
	s_delay_alu instid0(VALU_DEP_1) | instskip(SKIP_1) | instid1(VALU_DEP_3)
	v_cvt_f32_f16_e32 v0, v0
	s_wait_loadcnt 0x1
	v_mul_f16_e32 v4, v8, v1
	v_mul_f16_e32 v8, v8, v5
	s_wait_loadcnt 0x0
	s_delay_alu instid0(VALU_DEP_2) | instskip(NEXT) | instid1(VALU_DEP_2)
	v_fmac_f16_e32 v4, v15, v5
	v_fma_f16 v8, v15, v1, -v8
	v_cvt_f64_f32_e32 v[0:1], v0
	s_delay_alu instid0(VALU_DEP_3) | instskip(NEXT) | instid1(VALU_DEP_2)
	v_cvt_f32_f16_e32 v4, v4
	v_mul_f64_e32 v[0:1], s[10:11], v[0:1]
	s_delay_alu instid0(VALU_DEP_1) | instskip(SKIP_1) | instid1(VALU_DEP_2)
	v_and_or_b32 v0, 0x1ff, v1, v0
	v_lshrrev_b32_e32 v5, 8, v1
	v_cmp_ne_u32_e64 s1, 0, v0
	s_wait_alu 0xf1ff
	s_delay_alu instid0(VALU_DEP_1) | instskip(NEXT) | instid1(VALU_DEP_1)
	v_cndmask_b32_e64 v0, 0, 1, s1
	v_and_or_b32 v0, 0xffe, v5, v0
	v_bfe_u32 v5, v1, 20, 11
	v_lshrrev_b32_e32 v1, 16, v1
	s_delay_alu instid0(VALU_DEP_3) | instskip(NEXT) | instid1(VALU_DEP_3)
	v_or_b32_e32 v16, 0x1000, v0
	v_sub_nc_u32_e32 v15, 0x3f1, v5
	v_add_nc_u32_e32 v5, 0xfffffc10, v5
	v_cmp_ne_u32_e64 s2, 0, v0
	s_delay_alu instid0(VALU_DEP_3) | instskip(NEXT) | instid1(VALU_DEP_1)
	v_med3_i32 v15, v15, 0, 13
	v_lshrrev_b32_e32 v17, v15, v16
	s_delay_alu instid0(VALU_DEP_1) | instskip(NEXT) | instid1(VALU_DEP_1)
	v_lshlrev_b32_e32 v15, v15, v17
	v_cmp_ne_u32_e64 s1, v15, v16
	v_lshl_or_b32 v16, v5, 12, v0
	s_wait_alu 0xf1ff
	s_delay_alu instid0(VALU_DEP_2) | instskip(SKIP_1) | instid1(VALU_DEP_2)
	v_cndmask_b32_e64 v15, 0, 1, s1
	v_cmp_gt_i32_e64 s1, 1, v5
	v_or_b32_e32 v15, v17, v15
	s_wait_alu 0xf1ff
	s_delay_alu instid0(VALU_DEP_1) | instskip(SKIP_3) | instid1(VALU_DEP_2)
	v_cndmask_b32_e64 v15, v16, v15, s1
	s_wait_alu 0xfffd
	v_cndmask_b32_e64 v16, 0, 1, vcc_lo
	v_cmp_gt_i32_e32 vcc_lo, 1, v13
	v_or_b32_e32 v14, v14, v16
	v_lshl_or_b32 v16, v13, 12, v6
	s_wait_alu 0xfffd
	s_delay_alu instid0(VALU_DEP_1) | instskip(SKIP_1) | instid1(VALU_DEP_2)
	v_cndmask_b32_e32 v14, v16, v14, vcc_lo
	v_and_b32_e32 v16, 7, v15
	v_and_b32_e32 v0, 7, v14
	s_delay_alu instid0(VALU_DEP_2) | instskip(SKIP_1) | instid1(VALU_DEP_3)
	v_cmp_lt_i32_e32 vcc_lo, 5, v16
	v_cmp_eq_u32_e64 s1, 3, v16
	v_cmp_lt_i32_e64 s3, 5, v0
	v_cmp_eq_u32_e64 s4, 3, v0
	v_lshrrev_b32_e32 v0, 2, v15
	s_delay_alu instid0(VALU_DEP_4) | instskip(SKIP_1) | instid1(VALU_DEP_3)
	s_or_b32 vcc_lo, s1, vcc_lo
	v_cndmask_b32_e64 v15, 0, 1, s2
	s_or_b32 s1, s4, s3
	s_wait_alu 0xfffe
	v_add_co_ci_u32_e32 v0, vcc_lo, 0, v0, vcc_lo
	v_cmp_gt_i32_e32 vcc_lo, 31, v5
	v_lshl_or_b32 v15, v15, 9, 0x7c00
	s_wait_alu 0xfffd
	s_delay_alu instid0(VALU_DEP_3) | instskip(SKIP_3) | instid1(VALU_DEP_3)
	v_cndmask_b32_e32 v0, 0x7c00, v0, vcc_lo
	v_cmp_eq_u32_e32 vcc_lo, 0x40f, v5
	v_lshrrev_b32_e32 v5, 2, v14
	s_wait_alu 0xfffd
	v_cndmask_b32_e32 v0, v0, v15, vcc_lo
	v_cmp_ne_u32_e32 vcc_lo, 0, v6
	s_delay_alu instid0(VALU_DEP_3)
	v_add_co_ci_u32_e64 v5, s1, 0, v5, s1
	v_cmp_gt_i32_e64 s1, 31, v13
	ds_load_2addr_b32 v[15:16], v243 offset0:68 offset1:193
	s_wait_alu 0xfffd
	v_cndmask_b32_e64 v6, 0, 1, vcc_lo
	v_cmp_eq_u32_e32 vcc_lo, 0x40f, v13
	v_and_or_b32 v0, 0x8000, v1, v0
	s_wait_alu 0xf1ff
	v_cndmask_b32_e64 v5, 0x7c00, v5, s1
	v_lshl_or_b32 v6, v6, 9, 0x7c00
	s_wait_alu 0xfffd
	s_delay_alu instid0(VALU_DEP_1) | instskip(SKIP_4) | instid1(VALU_DEP_3)
	v_dual_cndmask_b32 v5, v5, v6 :: v_dual_and_b32 v0, 0xffff, v0
	v_lshrrev_b32_e32 v6, 16, v7
	v_add_co_u32 v13, vcc_lo, v20, s14
	s_wait_alu 0xfffd
	v_add_co_ci_u32_e32 v14, vcc_lo, s15, v21, vcc_lo
	v_and_or_b32 v1, 0x8000, v6, v5
	scratch_load_b32 v6, off, off offset:208 th:TH_LOAD_LU ; 4-byte Folded Reload
	v_lshl_or_b32 v0, v1, 16, v0
	global_store_b32 v[20:21], v0, off
	s_wait_dscnt 0x0
	v_lshrrev_b32_e32 v20, 16, v15
	v_mul_f16_e32 v0, v23, v15
	s_delay_alu instid0(VALU_DEP_1) | instskip(NEXT) | instid1(VALU_DEP_1)
	v_fma_f16 v0, v24, v20, -v0
	v_cvt_f32_f16_e32 v0, v0
	s_delay_alu instid0(VALU_DEP_1) | instskip(NEXT) | instid1(VALU_DEP_1)
	v_cvt_f64_f32_e32 v[0:1], v0
	v_mul_f64_e32 v[17:18], s[10:11], v[0:1]
	s_delay_alu instid0(VALU_DEP_1) | instskip(SKIP_2) | instid1(VALU_DEP_3)
	v_and_or_b32 v0, 0x1ff, v18, v17
	v_lshrrev_b32_e32 v1, 8, v18
	v_bfe_u32 v21, v18, 20, 11
	v_cmp_ne_u32_e32 vcc_lo, 0, v0
	s_wait_alu 0xfffd
	v_cndmask_b32_e64 v0, 0, 1, vcc_lo
	s_delay_alu instid0(VALU_DEP_1) | instskip(SKIP_1) | instid1(VALU_DEP_2)
	v_and_or_b32 v17, 0xffe, v1, v0
	v_sub_nc_u32_e32 v0, 0x3f1, v21
	v_or_b32_e32 v1, 0x1000, v17
	s_delay_alu instid0(VALU_DEP_2) | instskip(NEXT) | instid1(VALU_DEP_1)
	v_med3_i32 v0, v0, 0, 13
	v_lshrrev_b32_e32 v22, v0, v1
	s_delay_alu instid0(VALU_DEP_1) | instskip(NEXT) | instid1(VALU_DEP_1)
	v_lshlrev_b32_e32 v0, v0, v22
	v_cmp_ne_u32_e64 s1, v0, v1
	scratch_load_b32 v1, off, off offset:212 th:TH_LOAD_LU ; 4-byte Folded Reload
	v_lshrrev_b32_e32 v0, 16, v12
	s_wait_loadcnt 0x0
	s_delay_alu instid0(VALU_DEP_1) | instskip(SKIP_1) | instid1(VALU_DEP_2)
	v_mul_f16_e32 v5, v1, v0
	v_mul_f16_e32 v1, v1, v12
	v_fmac_f16_e32 v5, v6, v12
	s_delay_alu instid0(VALU_DEP_2) | instskip(SKIP_1) | instid1(VALU_DEP_1)
	v_fma_f16 v11, v6, v0, -v1
	v_cvt_f32_f16_e32 v0, v8
	v_cvt_f64_f32_e32 v[0:1], v0
	s_delay_alu instid0(VALU_DEP_1) | instskip(NEXT) | instid1(VALU_DEP_1)
	v_mul_f64_e32 v[0:1], s[10:11], v[0:1]
	v_and_or_b32 v0, 0x1ff, v1, v0
	v_lshrrev_b32_e32 v6, 8, v1
	s_delay_alu instid0(VALU_DEP_2) | instskip(SKIP_2) | instid1(VALU_DEP_1)
	v_cmp_ne_u32_e32 vcc_lo, 0, v0
	s_wait_alu 0xfffd
	v_cndmask_b32_e64 v0, 0, 1, vcc_lo
	v_and_or_b32 v0, 0xffe, v6, v0
	v_bfe_u32 v6, v1, 20, 11
	v_lshrrev_b32_e32 v1, 16, v1
	s_delay_alu instid0(VALU_DEP_3) | instskip(NEXT) | instid1(VALU_DEP_3)
	v_or_b32_e32 v12, 0x1000, v0
	v_sub_nc_u32_e32 v7, 0x3f1, v6
	v_add_nc_u32_e32 v6, 0xfffffc10, v6
	v_cmp_ne_u32_e64 s6, 0, v0
	s_delay_alu instid0(VALU_DEP_3) | instskip(NEXT) | instid1(VALU_DEP_1)
	v_med3_i32 v8, v7, 0, 13
	v_lshrrev_b32_e32 v7, v8, v12
	s_delay_alu instid0(VALU_DEP_1) | instskip(NEXT) | instid1(VALU_DEP_1)
	v_lshlrev_b32_e32 v8, v8, v7
	v_cmp_ne_u32_e32 vcc_lo, v8, v12
	v_mul_f16_e32 v12, v23, v20
	s_clause 0x1
	scratch_load_b32 v20, off, off offset:204 th:TH_LOAD_LU
	scratch_load_b32 v23, off, off offset:200 th:TH_LOAD_LU
	v_fmac_f16_e32 v12, v24, v15
	v_lshrrev_b32_e32 v15, 16, v16
	s_wait_loadcnt 0x1
	s_delay_alu instid0(VALU_DEP_1) | instskip(SKIP_2) | instid1(VALU_DEP_2)
	v_mul_f16_e32 v8, v20, v15
	v_mul_f16_e32 v20, v20, v16
	s_wait_loadcnt 0x0
	v_fmac_f16_e32 v8, v23, v16
	s_delay_alu instid0(VALU_DEP_2) | instskip(SKIP_1) | instid1(VALU_DEP_3)
	v_fma_f16 v20, v23, v15, -v20
	v_cvt_f32_f16_e32 v15, v19
	v_cvt_f32_f16_e32 v8, v8
	s_delay_alu instid0(VALU_DEP_2) | instskip(NEXT) | instid1(VALU_DEP_1)
	v_cvt_f64_f32_e32 v[15:16], v15
	v_mul_f64_e32 v[15:16], s[10:11], v[15:16]
	s_delay_alu instid0(VALU_DEP_1) | instskip(SKIP_1) | instid1(VALU_DEP_2)
	v_and_or_b32 v15, 0x1ff, v16, v15
	v_lshrrev_b32_e32 v19, 8, v16
	v_cmp_ne_u32_e64 s2, 0, v15
	s_wait_alu 0xf1ff
	s_delay_alu instid0(VALU_DEP_1) | instskip(NEXT) | instid1(VALU_DEP_1)
	v_cndmask_b32_e64 v15, 0, 1, s2
	v_and_or_b32 v15, 0xffe, v19, v15
	v_bfe_u32 v19, v16, 20, 11
	v_lshrrev_b32_e32 v16, 16, v16
	s_delay_alu instid0(VALU_DEP_3) | instskip(NEXT) | instid1(VALU_DEP_3)
	v_or_b32_e32 v24, 0x1000, v15
	v_sub_nc_u32_e32 v23, 0x3f1, v19
	v_add_nc_u32_e32 v19, 0xfffffc10, v19
	v_cmp_ne_u32_e64 s4, 0, v15
	s_delay_alu instid0(VALU_DEP_3) | instskip(NEXT) | instid1(VALU_DEP_1)
	v_med3_i32 v23, v23, 0, 13
	v_lshrrev_b32_e32 v25, v23, v24
	s_delay_alu instid0(VALU_DEP_1) | instskip(NEXT) | instid1(VALU_DEP_1)
	v_lshlrev_b32_e32 v23, v23, v25
	v_cmp_ne_u32_e64 s2, v23, v24
	v_lshl_or_b32 v24, v19, 12, v15
	v_cndmask_b32_e64 v15, 0, 1, s0
	v_cmp_gt_i32_e64 s0, 1, v9
	s_wait_alu 0xf1ff
	v_cndmask_b32_e64 v23, 0, 1, s2
	v_cmp_gt_i32_e64 s2, 1, v19
	v_or_b32_e32 v10, v10, v15
	v_lshl_or_b32 v15, v9, 12, v3
	s_delay_alu instid0(VALU_DEP_4)
	v_or_b32_e32 v23, v25, v23
	s_clause 0x1
	scratch_load_b32 v25, off, off offset:188 th:TH_LOAD_LU
	scratch_load_b32 v33, off, off offset:180 th:TH_LOAD_LU
	v_cndmask_b32_e64 v10, v15, v10, s0
	s_wait_alu 0xf1ff
	v_cndmask_b32_e64 v23, v24, v23, s2
	s_delay_alu instid0(VALU_DEP_1) | instskip(SKIP_2) | instid1(VALU_DEP_3)
	v_and_b32_e32 v24, 7, v23
	v_lshrrev_b32_e32 v15, 2, v23
	v_cndmask_b32_e64 v23, 0, 1, s4
	v_cmp_lt_i32_e64 s2, 5, v24
	v_cmp_eq_u32_e64 s3, 3, v24
	s_delay_alu instid0(VALU_DEP_3)
	v_lshl_or_b32 v23, v23, 9, 0x7c00
	scratch_load_b32 v24, off, off offset:184 th:TH_LOAD_LU ; 4-byte Folded Reload
	s_or_b32 s0, s3, s2
	v_cmp_ne_u32_e64 s3, 0, v3
	s_wait_alu 0xfffe
	v_add_co_ci_u32_e64 v15, s0, 0, v15, s0
	v_cmp_gt_i32_e64 s0, 31, v19
	v_lshrrev_b32_e32 v3, 2, v10
	s_wait_alu 0xf1ff
	s_delay_alu instid0(VALU_DEP_2) | instskip(SKIP_4) | instid1(VALU_DEP_3)
	v_cndmask_b32_e64 v15, 0x7c00, v15, s0
	v_cmp_eq_u32_e64 s0, 0x40f, v19
	v_and_b32_e32 v19, 7, v10
	v_cndmask_b32_e64 v10, 0, 1, s3
	s_wait_alu 0xf1ff
	v_cndmask_b32_e64 v15, v15, v23, s0
	s_delay_alu instid0(VALU_DEP_3) | instskip(SKIP_2) | instid1(VALU_DEP_2)
	v_cmp_lt_i32_e64 s0, 5, v19
	v_cmp_eq_u32_e64 s2, 3, v19
	v_lshl_or_b32 v10, v10, 9, 0x7c00
	s_or_b32 s0, s2, s0
	s_wait_alu 0xfffe
	v_add_co_ci_u32_e64 v3, s0, 0, v3, s0
	v_cmp_gt_i32_e64 s0, 31, v9
	s_wait_alu 0xf1ff
	s_delay_alu instid0(VALU_DEP_1) | instskip(SKIP_3) | instid1(VALU_DEP_2)
	v_cndmask_b32_e64 v3, 0x7c00, v3, s0
	v_cmp_eq_u32_e64 s0, 0x40f, v9
	v_and_or_b32 v9, 0x8000, v16, v15
	s_wait_alu 0xf1ff
	v_cndmask_b32_e64 v3, v3, v10, s0
	s_delay_alu instid0(VALU_DEP_1) | instskip(NEXT) | instid1(VALU_DEP_3)
	v_and_or_b32 v2, 0x8000, v2, v3
	v_and_b32_e32 v3, 0xffff, v9
	v_cvt_f32_f16_e32 v9, v12
	s_delay_alu instid0(VALU_DEP_2) | instskip(NEXT) | instid1(VALU_DEP_2)
	v_lshl_or_b32 v2, v2, 16, v3
	v_cvt_f64_f32_e32 v[9:10], v9
	global_store_b32 v[13:14], v2, off
	v_add_co_u32 v2, s0, v13, s14
	s_wait_alu 0xf1ff
	v_add_co_ci_u32_e64 v3, s0, s15, v14, s0
	v_mul_f64_e32 v[9:10], s[10:11], v[9:10]
	s_delay_alu instid0(VALU_DEP_1) | instskip(SKIP_1) | instid1(VALU_DEP_2)
	v_and_or_b32 v9, 0x1ff, v10, v9
	v_lshrrev_b32_e32 v12, 8, v10
	v_cmp_ne_u32_e64 s0, 0, v9
	s_wait_alu 0xf1ff
	s_delay_alu instid0(VALU_DEP_1) | instskip(NEXT) | instid1(VALU_DEP_1)
	v_cndmask_b32_e64 v9, 0, 1, s0
	v_and_or_b32 v9, 0xffe, v12, v9
	v_bfe_u32 v12, v10, 20, 11
	v_lshrrev_b32_e32 v10, 16, v10
	s_delay_alu instid0(VALU_DEP_3) | instskip(NEXT) | instid1(VALU_DEP_3)
	v_or_b32_e32 v14, 0x1000, v9
	v_sub_nc_u32_e32 v13, 0x3f1, v12
	v_add_nc_u32_e32 v12, 0xfffffc10, v12
	v_cmp_ne_u32_e64 s3, 0, v9
	s_delay_alu instid0(VALU_DEP_3) | instskip(NEXT) | instid1(VALU_DEP_1)
	v_med3_i32 v13, v13, 0, 13
	v_lshrrev_b32_e32 v15, v13, v14
	s_delay_alu instid0(VALU_DEP_1) | instskip(NEXT) | instid1(VALU_DEP_1)
	v_lshlrev_b32_e32 v13, v13, v15
	v_cmp_ne_u32_e64 s0, v13, v14
	v_lshl_or_b32 v14, v12, 12, v9
	v_cndmask_b32_e64 v9, 0, 1, s1
	s_wait_alu 0xf1ff
	s_delay_alu instid0(VALU_DEP_3) | instskip(SKIP_1) | instid1(VALU_DEP_3)
	v_cndmask_b32_e64 v13, 0, 1, s0
	v_cmp_gt_i32_e64 s0, 1, v12
	v_or_b32_e32 v9, v22, v9
	s_delay_alu instid0(VALU_DEP_3) | instskip(SKIP_1) | instid1(VALU_DEP_1)
	v_or_b32_e32 v13, v15, v13
	s_wait_alu 0xf1ff
	v_cndmask_b32_e64 v13, v14, v13, s0
	s_delay_alu instid0(VALU_DEP_1) | instskip(SKIP_1) | instid1(VALU_DEP_2)
	v_and_b32_e32 v14, 7, v13
	v_lshrrev_b32_e32 v13, 2, v13
	v_cmp_lt_i32_e64 s0, 5, v14
	v_cmp_eq_u32_e64 s2, 3, v14
	v_add_nc_u32_e32 v14, 0xfffffc10, v21
	s_delay_alu instid0(VALU_DEP_2) | instskip(NEXT) | instid1(VALU_DEP_1)
	s_or_b32 s0, s2, s0
	v_lshl_or_b32 v15, v14, 12, v17
	v_cmp_gt_i32_e64 s1, 1, v14
	s_wait_alu 0xfffe
	v_add_co_ci_u32_e64 v13, s0, 0, v13, s0
	v_cmp_gt_i32_e64 s0, 31, v12
	v_cmp_ne_u32_e64 s2, 0, v17
	s_wait_alu 0xf1ff
	v_cndmask_b32_e64 v9, v15, v9, s1
	v_cndmask_b32_e64 v15, 0, 1, s3
	;; [unrolled: 1-line block ×3, first 2 shown]
	v_cmp_eq_u32_e64 s0, 0x40f, v12
	s_delay_alu instid0(VALU_DEP_3) | instskip(SKIP_1) | instid1(VALU_DEP_1)
	v_lshl_or_b32 v15, v15, 9, 0x7c00
	s_wait_alu 0xf1ff
	v_cndmask_b32_e64 v12, v13, v15, s0
	v_and_b32_e32 v13, 7, v9
	v_lshrrev_b32_e32 v9, 2, v9
	s_delay_alu instid0(VALU_DEP_3) | instskip(NEXT) | instid1(VALU_DEP_3)
	v_and_or_b32 v10, 0x8000, v10, v12
	v_cmp_lt_i32_e64 s0, 5, v13
	v_cmp_eq_u32_e64 s1, 3, v13
	v_cndmask_b32_e64 v13, 0, 1, s2
	s_delay_alu instid0(VALU_DEP_4) | instskip(NEXT) | instid1(VALU_DEP_3)
	v_and_b32_e32 v10, 0xffff, v10
	s_or_b32 s0, s1, s0
	s_delay_alu instid0(VALU_DEP_2) | instskip(SKIP_4) | instid1(VALU_DEP_1)
	v_lshl_or_b32 v13, v13, 9, 0x7c00
	s_wait_alu 0xfffe
	v_add_co_ci_u32_e64 v9, s0, 0, v9, s0
	v_cmp_gt_i32_e64 s0, 31, v14
	s_wait_alu 0xf1ff
	v_cndmask_b32_e64 v9, 0x7c00, v9, s0
	v_cmp_eq_u32_e64 s0, 0x40f, v14
	s_wait_alu 0xf1ff
	s_delay_alu instid0(VALU_DEP_1) | instskip(SKIP_1) | instid1(VALU_DEP_1)
	v_cndmask_b32_e64 v9, v9, v13, s0
	v_lshrrev_b32_e32 v13, 16, v18
	v_and_or_b32 v9, 0x8000, v13, v9
	s_delay_alu instid0(VALU_DEP_1)
	v_lshl_or_b32 v9, v9, 16, v10
	global_store_b32 v[2:3], v9, off
	v_add_co_u32 v9, s0, v2, s8
	v_cvt_f32_f16_e32 v2, v11
	s_wait_alu 0xf1ff
	v_add_co_ci_u32_e64 v10, s0, s9, v3, s0
	s_delay_alu instid0(VALU_DEP_2) | instskip(NEXT) | instid1(VALU_DEP_1)
	v_cvt_f64_f32_e32 v[2:3], v2
	v_mul_f64_e32 v[12:13], s[10:11], v[2:3]
	s_delay_alu instid0(VALU_DEP_1) | instskip(SKIP_3) | instid1(VALU_DEP_4)
	v_and_or_b32 v2, 0x1ff, v13, v12
	v_lshrrev_b32_e32 v3, 8, v13
	v_bfe_u32 v17, v13, 20, 11
	v_lshrrev_b32_e32 v13, 16, v13
	v_cmp_ne_u32_e64 s0, 0, v2
	s_wait_alu 0xf1ff
	s_delay_alu instid0(VALU_DEP_1) | instskip(NEXT) | instid1(VALU_DEP_1)
	v_cndmask_b32_e64 v2, 0, 1, s0
	v_and_or_b32 v16, 0xffe, v3, v2
	v_sub_nc_u32_e32 v2, 0x3f1, v17
	s_delay_alu instid0(VALU_DEP_2) | instskip(NEXT) | instid1(VALU_DEP_2)
	v_or_b32_e32 v3, 0x1000, v16
	v_med3_i32 v2, v2, 0, 13
	s_delay_alu instid0(VALU_DEP_1) | instskip(NEXT) | instid1(VALU_DEP_1)
	v_lshrrev_b32_e32 v21, v2, v3
	v_lshlrev_b32_e32 v2, v2, v21
	s_delay_alu instid0(VALU_DEP_1) | instskip(SKIP_1) | instid1(VALU_DEP_1)
	v_cmp_ne_u32_e64 s1, v2, v3
	v_cvt_f32_f16_e32 v2, v20
	v_cvt_f64_f32_e32 v[2:3], v2
	s_delay_alu instid0(VALU_DEP_1) | instskip(NEXT) | instid1(VALU_DEP_1)
	v_mul_f64_e32 v[2:3], s[10:11], v[2:3]
	v_and_or_b32 v2, 0x1ff, v3, v2
	v_lshrrev_b32_e32 v11, 8, v3
	s_delay_alu instid0(VALU_DEP_2) | instskip(SKIP_1) | instid1(VALU_DEP_1)
	v_cmp_ne_u32_e64 s0, 0, v2
	s_wait_alu 0xf1ff
	v_cndmask_b32_e64 v2, 0, 1, s0
	s_delay_alu instid0(VALU_DEP_1) | instskip(SKIP_2) | instid1(VALU_DEP_3)
	v_and_or_b32 v2, 0xffe, v11, v2
	v_bfe_u32 v11, v3, 20, 11
	v_lshrrev_b32_e32 v3, 16, v3
	v_or_b32_e32 v15, 0x1000, v2
	s_delay_alu instid0(VALU_DEP_3) | instskip(SKIP_1) | instid1(VALU_DEP_2)
	v_sub_nc_u32_e32 v12, 0x3f1, v11
	v_add_nc_u32_e32 v11, 0xfffffc10, v11
	v_med3_i32 v14, v12, 0, 13
	s_delay_alu instid0(VALU_DEP_1) | instskip(NEXT) | instid1(VALU_DEP_1)
	v_lshrrev_b32_e32 v12, v14, v15
	v_lshlrev_b32_e32 v14, v14, v12
	s_delay_alu instid0(VALU_DEP_1) | instskip(SKIP_1) | instid1(VALU_DEP_1)
	v_cmp_ne_u32_e64 s0, v14, v15
	v_cvt_f64_f32_e32 v[14:15], v4
	v_mul_f64_e32 v[14:15], s[10:11], v[14:15]
	s_delay_alu instid0(VALU_DEP_1) | instskip(SKIP_1) | instid1(VALU_DEP_2)
	v_and_or_b32 v4, 0x1ff, v15, v14
	v_lshrrev_b32_e32 v14, 8, v15
	v_cmp_ne_u32_e64 s2, 0, v4
	s_wait_alu 0xf1ff
	s_delay_alu instid0(VALU_DEP_1) | instskip(NEXT) | instid1(VALU_DEP_1)
	v_cndmask_b32_e64 v4, 0, 1, s2
	v_and_or_b32 v4, 0xffe, v14, v4
	v_bfe_u32 v14, v15, 20, 11
	s_delay_alu instid0(VALU_DEP_2) | instskip(NEXT) | instid1(VALU_DEP_2)
	v_or_b32_e32 v19, 0x1000, v4
	v_sub_nc_u32_e32 v18, 0x3f1, v14
	v_add_nc_u32_e32 v14, 0xfffffc10, v14
	v_cmp_ne_u32_e64 s3, 0, v4
	s_delay_alu instid0(VALU_DEP_3) | instskip(NEXT) | instid1(VALU_DEP_1)
	v_med3_i32 v18, v18, 0, 13
	v_lshrrev_b32_e32 v20, v18, v19
	s_delay_alu instid0(VALU_DEP_1) | instskip(NEXT) | instid1(VALU_DEP_1)
	v_lshlrev_b32_e32 v18, v18, v20
	v_cmp_ne_u32_e64 s2, v18, v19
	v_lshl_or_b32 v19, v14, 12, v4
	s_wait_alu 0xf1ff
	s_delay_alu instid0(VALU_DEP_2) | instskip(SKIP_1) | instid1(VALU_DEP_2)
	v_cndmask_b32_e64 v18, 0, 1, s2
	v_cmp_gt_i32_e64 s2, 1, v14
	v_or_b32_e32 v18, v20, v18
	s_wait_alu 0xf1ff
	s_delay_alu instid0(VALU_DEP_1) | instskip(SKIP_3) | instid1(VALU_DEP_2)
	v_cndmask_b32_e64 v18, v19, v18, s2
	s_wait_alu 0xfffd
	v_cndmask_b32_e64 v19, 0, 1, vcc_lo
	v_cmp_gt_i32_e32 vcc_lo, 1, v6
	v_or_b32_e32 v7, v7, v19
	v_lshl_or_b32 v19, v6, 12, v0
	v_lshrrev_b32_e32 v0, 2, v18
	s_wait_alu 0xfffd
	s_delay_alu instid0(VALU_DEP_2) | instskip(SKIP_1) | instid1(VALU_DEP_2)
	v_cndmask_b32_e32 v7, v19, v7, vcc_lo
	v_and_b32_e32 v19, 7, v18
	v_and_b32_e32 v4, 7, v7
	s_delay_alu instid0(VALU_DEP_2)
	v_cmp_lt_i32_e32 vcc_lo, 5, v19
	v_cmp_eq_u32_e64 s2, 3, v19
	v_lshrrev_b32_e32 v7, 2, v7
	ds_load_2addr_b32 v[18:19], v156 offset0:122 offset1:247
	v_cmp_lt_i32_e64 s4, 5, v4
	v_cmp_eq_u32_e64 s5, 3, v4
	s_or_b32 vcc_lo, s2, vcc_lo
	v_cndmask_b32_e64 v4, 0, 1, s3
	s_wait_alu 0xfffe
	v_add_co_ci_u32_e32 v0, vcc_lo, 0, v0, vcc_lo
	v_cmp_gt_i32_e32 vcc_lo, 31, v14
	s_delay_alu instid0(VALU_DEP_3) | instskip(SKIP_1) | instid1(VALU_DEP_3)
	v_lshl_or_b32 v4, v4, 9, 0x7c00
	s_wait_alu 0xfffd
	v_cndmask_b32_e32 v0, 0x7c00, v0, vcc_lo
	v_cmp_eq_u32_e32 vcc_lo, 0x40f, v14
	v_cndmask_b32_e64 v14, 0, 1, s6
	s_wait_alu 0xfffd
	s_delay_alu instid0(VALU_DEP_3)
	v_cndmask_b32_e32 v0, v0, v4, vcc_lo
	s_or_b32 vcc_lo, s5, s4
	v_lshrrev_b32_e32 v4, 16, v15
	s_wait_alu 0xfffe
	v_add_co_ci_u32_e32 v7, vcc_lo, 0, v7, vcc_lo
	v_cmp_gt_i32_e32 vcc_lo, 31, v6
	v_lshl_or_b32 v14, v14, 9, 0x7c00
	v_and_or_b32 v0, 0x8000, v4, v0
	s_wait_alu 0xfffd
	v_cndmask_b32_e32 v7, 0x7c00, v7, vcc_lo
	v_cmp_eq_u32_e32 vcc_lo, 0x40f, v6
	s_delay_alu instid0(VALU_DEP_3) | instskip(SKIP_1) | instid1(VALU_DEP_3)
	v_and_b32_e32 v0, 0xffff, v0
	s_wait_alu 0xfffd
	v_cndmask_b32_e32 v6, v7, v14, vcc_lo
	s_wait_dscnt 0x0
	v_lshrrev_b32_e32 v14, 16, v18
	s_delay_alu instid0(VALU_DEP_2) | instskip(SKIP_3) | instid1(VALU_DEP_3)
	v_and_or_b32 v1, 0x8000, v1, v6
	v_add_co_u32 v6, vcc_lo, v9, s14
	s_wait_alu 0xfffd
	v_add_co_ci_u32_e32 v7, vcc_lo, s15, v10, vcc_lo
	v_lshl_or_b32 v0, v1, 16, v0
	s_wait_loadcnt 0x0
	v_mul_f16_e32 v27, v24, v14
	global_store_b32 v[9:10], v0, off
	v_mul_f16_e32 v0, v24, v18
	v_fmac_f16_e32 v27, v25, v18
	v_lshrrev_b32_e32 v24, 16, v19
	s_delay_alu instid0(VALU_DEP_3) | instskip(SKIP_4) | instid1(VALU_DEP_1)
	v_fma_f16 v0, v25, v14, -v0
	s_clause 0x1
	scratch_load_b32 v14, off, off offset:160 th:TH_LOAD_LU
	scratch_load_b32 v25, off, off offset:164 th:TH_LOAD_LU
	v_cvt_f32_f16_e32 v0, v0
	v_cvt_f64_f32_e32 v[0:1], v0
	s_delay_alu instid0(VALU_DEP_1) | instskip(NEXT) | instid1(VALU_DEP_1)
	v_mul_f64_e32 v[0:1], s[10:11], v[0:1]
	v_and_or_b32 v0, 0x1ff, v1, v0
	v_lshrrev_b32_e32 v4, 8, v1
	v_bfe_u32 v9, v1, 20, 11
	v_lshrrev_b32_e32 v1, 16, v1
	s_delay_alu instid0(VALU_DEP_4) | instskip(SKIP_2) | instid1(VALU_DEP_1)
	v_cmp_ne_u32_e32 vcc_lo, 0, v0
	s_wait_alu 0xfffd
	v_cndmask_b32_e64 v0, 0, 1, vcc_lo
	v_and_or_b32 v0, 0xffe, v4, v0
	v_sub_nc_u32_e32 v4, 0x3f1, v9
	s_delay_alu instid0(VALU_DEP_2) | instskip(NEXT) | instid1(VALU_DEP_2)
	v_or_b32_e32 v15, 0x1000, v0
	v_med3_i32 v4, v4, 0, 13
	s_delay_alu instid0(VALU_DEP_1) | instskip(NEXT) | instid1(VALU_DEP_1)
	v_lshrrev_b32_e32 v10, v4, v15
	v_lshlrev_b32_e32 v4, v4, v10
	s_delay_alu instid0(VALU_DEP_1) | instskip(SKIP_1) | instid1(VALU_DEP_1)
	v_cmp_ne_u32_e32 vcc_lo, v4, v15
	v_cvt_f32_f16_e32 v4, v5
	v_cvt_f64_f32_e32 v[4:5], v4
	s_delay_alu instid0(VALU_DEP_1) | instskip(NEXT) | instid1(VALU_DEP_1)
	v_mul_f64_e32 v[4:5], s[10:11], v[4:5]
	v_and_or_b32 v4, 0x1ff, v5, v4
	v_lshrrev_b32_e32 v15, 8, v5
	s_delay_alu instid0(VALU_DEP_2) | instskip(SKIP_1) | instid1(VALU_DEP_1)
	v_cmp_ne_u32_e64 s2, 0, v4
	s_wait_alu 0xf1ff
	v_cndmask_b32_e64 v4, 0, 1, s2
	s_delay_alu instid0(VALU_DEP_1) | instskip(SKIP_2) | instid1(VALU_DEP_3)
	v_and_or_b32 v4, 0xffe, v15, v4
	v_bfe_u32 v15, v5, 20, 11
	v_lshrrev_b32_e32 v5, 16, v5
	v_or_b32_e32 v22, 0x1000, v4
	s_delay_alu instid0(VALU_DEP_3) | instskip(SKIP_1) | instid1(VALU_DEP_2)
	v_sub_nc_u32_e32 v20, 0x3f1, v15
	v_add_nc_u32_e32 v15, 0xfffffc10, v15
	v_med3_i32 v20, v20, 0, 13
	s_delay_alu instid0(VALU_DEP_1) | instskip(NEXT) | instid1(VALU_DEP_1)
	v_lshrrev_b32_e32 v23, v20, v22
	v_lshlrev_b32_e32 v20, v20, v23
	s_delay_alu instid0(VALU_DEP_1) | instskip(SKIP_2) | instid1(VALU_DEP_2)
	v_cmp_ne_u32_e64 s2, v20, v22
	v_lshl_or_b32 v22, v15, 12, v4
	s_wait_alu 0xf1ff
	v_cndmask_b32_e64 v20, 0, 1, s2
	v_cmp_gt_i32_e64 s2, 1, v15
	s_delay_alu instid0(VALU_DEP_2) | instskip(SKIP_1) | instid1(VALU_DEP_1)
	v_or_b32_e32 v20, v23, v20
	s_wait_alu 0xf1ff
	v_cndmask_b32_e64 v20, v22, v20, s2
	s_delay_alu instid0(VALU_DEP_1) | instskip(SKIP_1) | instid1(VALU_DEP_2)
	v_and_b32_e32 v22, 7, v20
	v_lshrrev_b32_e32 v20, 2, v20
	v_cmp_lt_i32_e64 s2, 5, v22
	v_cmp_eq_u32_e64 s3, 3, v22
	v_cndmask_b32_e64 v22, 0, 1, s1
	v_cmp_ne_u32_e64 s1, 0, v4
	v_add_nc_u32_e32 v4, 0xfffffc10, v17
	s_delay_alu instid0(VALU_DEP_4) | instskip(NEXT) | instid1(VALU_DEP_3)
	s_or_b32 s2, s3, s2
	v_or_b32_e32 v21, v21, v22
	s_wait_alu 0xfffe
	v_add_co_ci_u32_e64 v20, s2, 0, v20, s2
	v_lshl_or_b32 v17, v4, 12, v16
	v_cmp_gt_i32_e64 s4, 1, v4
	v_cmp_gt_i32_e64 s2, 31, v15
	v_cmp_ne_u32_e64 s3, 0, v16
	ds_load_2addr_b32 v[22:23], v113 offset0:92 offset1:217
	s_wait_alu 0xf1ff
	v_cndmask_b32_e64 v17, v17, v21, s4
	v_cndmask_b32_e64 v21, 0, 1, s1
	;; [unrolled: 1-line block ×3, first 2 shown]
	v_cmp_eq_u32_e64 s1, 0x40f, v15
	s_delay_alu instid0(VALU_DEP_4) | instskip(NEXT) | instid1(VALU_DEP_4)
	v_lshrrev_b32_e32 v16, 2, v17
	v_lshl_or_b32 v21, v21, 9, 0x7c00
	s_wait_alu 0xf1ff
	s_delay_alu instid0(VALU_DEP_1) | instskip(SKIP_2) | instid1(VALU_DEP_3)
	v_cndmask_b32_e64 v15, v20, v21, s1
	v_and_b32_e32 v20, 7, v17
	v_cndmask_b32_e64 v17, 0, 1, s3
	v_and_or_b32 v5, 0x8000, v5, v15
	s_delay_alu instid0(VALU_DEP_3) | instskip(SKIP_1) | instid1(VALU_DEP_4)
	v_cmp_lt_i32_e64 s1, 5, v20
	v_cmp_eq_u32_e64 s2, 3, v20
	v_lshl_or_b32 v17, v17, 9, 0x7c00
	s_wait_dscnt 0x0
	v_lshrrev_b32_e32 v26, 16, v22
	v_and_b32_e32 v5, 0xffff, v5
	s_or_b32 s1, s2, s1
	s_wait_alu 0xfffe
	v_add_co_ci_u32_e64 v16, s1, 0, v16, s1
	v_cmp_gt_i32_e64 s1, 31, v4
	s_wait_alu 0xf1ff
	s_delay_alu instid0(VALU_DEP_1) | instskip(SKIP_2) | instid1(VALU_DEP_1)
	v_cndmask_b32_e64 v16, 0x7c00, v16, s1
	v_cmp_eq_u32_e64 s1, 0x40f, v4
	s_wait_alu 0xf1ff
	v_cndmask_b32_e64 v4, v16, v17, s1
	v_add_co_u32 v20, s1, v6, s14
	s_wait_alu 0xf1ff
	v_add_co_ci_u32_e64 v21, s1, s15, v7, s1
	s_delay_alu instid0(VALU_DEP_3) | instskip(NEXT) | instid1(VALU_DEP_1)
	v_and_or_b32 v4, 0x8000, v13, v4
	v_lshl_or_b32 v4, v4, 16, v5
	global_store_b32 v[6:7], v4, off
	v_mul_f16_e32 v4, v32, v22
	s_delay_alu instid0(VALU_DEP_1) | instskip(SKIP_1) | instid1(VALU_DEP_2)
	v_fma_f16 v4, v33, v26, -v4
	v_mul_f16_e32 v26, v32, v26
	v_cvt_f32_f16_e32 v4, v4
	s_delay_alu instid0(VALU_DEP_2) | instskip(SKIP_1) | instid1(VALU_DEP_3)
	v_fmac_f16_e32 v26, v33, v22
	v_lshrrev_b32_e32 v22, 16, v23
	v_cvt_f64_f32_e32 v[4:5], v4
	s_delay_alu instid0(VALU_DEP_1) | instskip(NEXT) | instid1(VALU_DEP_1)
	v_mul_f64_e32 v[6:7], s[10:11], v[4:5]
	v_and_or_b32 v4, 0x1ff, v7, v6
	v_lshrrev_b32_e32 v5, 8, v7
	v_bfe_u32 v16, v7, 20, 11
	v_lshrrev_b32_e32 v7, 16, v7
	s_delay_alu instid0(VALU_DEP_4) | instskip(SKIP_1) | instid1(VALU_DEP_1)
	v_cmp_ne_u32_e64 s1, 0, v4
	s_wait_alu 0xf1ff
	v_cndmask_b32_e64 v4, 0, 1, s1
	s_delay_alu instid0(VALU_DEP_1) | instskip(SKIP_2) | instid1(VALU_DEP_3)
	v_and_or_b32 v15, 0xffe, v5, v4
	v_sub_nc_u32_e32 v4, 0x3f1, v16
	v_add_nc_u32_e32 v16, 0xfffffc10, v16
	v_or_b32_e32 v5, 0x1000, v15
	s_delay_alu instid0(VALU_DEP_3) | instskip(NEXT) | instid1(VALU_DEP_1)
	v_med3_i32 v4, v4, 0, 13
	v_lshrrev_b32_e32 v17, v4, v5
	s_delay_alu instid0(VALU_DEP_1) | instskip(NEXT) | instid1(VALU_DEP_1)
	v_lshlrev_b32_e32 v4, v4, v17
	v_cmp_ne_u32_e64 s2, v4, v5
	scratch_load_b32 v4, off, off offset:168 th:TH_LOAD_LU ; 4-byte Folded Reload
	ds_load_2addr_b32 v[5:6], v250 offset0:62 offset1:187
	s_wait_loadcnt_dscnt 0x200
	v_mul_f16_e32 v13, v14, v5
	s_wait_loadcnt 0x0
	v_mul_f16_e32 v18, v4, v24
	s_delay_alu instid0(VALU_DEP_1) | instskip(SKIP_2) | instid1(VALU_DEP_2)
	v_fmac_f16_e32 v18, v30, v19
	v_mul_f16_e32 v19, v4, v19
	v_lshrrev_b32_e32 v4, 16, v5
	v_fma_f16 v19, v30, v24, -v19
	s_delay_alu instid0(VALU_DEP_2) | instskip(SKIP_1) | instid1(VALU_DEP_2)
	v_mul_f16_e32 v14, v14, v4
	v_fma_f16 v28, v25, v4, -v13
	v_fmac_f16_e32 v14, v25, v5
	s_delay_alu instid0(VALU_DEP_1) | instskip(NEXT) | instid1(VALU_DEP_1)
	v_cvt_f32_f16_e32 v4, v14
	v_cvt_f64_f32_e32 v[4:5], v4
	s_delay_alu instid0(VALU_DEP_1) | instskip(NEXT) | instid1(VALU_DEP_1)
	v_mul_f64_e32 v[4:5], s[10:11], v[4:5]
	v_and_or_b32 v4, 0x1ff, v5, v4
	v_lshrrev_b32_e32 v13, 8, v5
	s_delay_alu instid0(VALU_DEP_2) | instskip(SKIP_1) | instid1(VALU_DEP_1)
	v_cmp_ne_u32_e64 s1, 0, v4
	s_wait_alu 0xf1ff
	v_cndmask_b32_e64 v4, 0, 1, s1
	s_delay_alu instid0(VALU_DEP_1) | instskip(SKIP_2) | instid1(VALU_DEP_3)
	v_and_or_b32 v4, 0xffe, v13, v4
	v_bfe_u32 v13, v5, 20, 11
	v_lshrrev_b32_e32 v5, 16, v5
	v_or_b32_e32 v29, 0x1000, v4
	s_delay_alu instid0(VALU_DEP_3) | instskip(NEXT) | instid1(VALU_DEP_1)
	v_sub_nc_u32_e32 v14, 0x3f1, v13
	v_med3_i32 v25, v14, 0, 13
	s_delay_alu instid0(VALU_DEP_1) | instskip(NEXT) | instid1(VALU_DEP_1)
	v_lshrrev_b32_e32 v14, v25, v29
	v_lshlrev_b32_e32 v25, v25, v14
	s_delay_alu instid0(VALU_DEP_1) | instskip(SKIP_1) | instid1(VALU_DEP_1)
	v_cmp_ne_u32_e64 s1, v25, v29
	v_cvt_f64_f32_e32 v[24:25], v8
	v_mul_f64_e32 v[24:25], s[10:11], v[24:25]
	s_delay_alu instid0(VALU_DEP_1) | instskip(SKIP_1) | instid1(VALU_DEP_2)
	v_and_or_b32 v8, 0x1ff, v25, v24
	v_lshrrev_b32_e32 v24, 8, v25
	v_cmp_ne_u32_e64 s3, 0, v8
	s_wait_alu 0xf1ff
	s_delay_alu instid0(VALU_DEP_1) | instskip(NEXT) | instid1(VALU_DEP_1)
	v_cndmask_b32_e64 v8, 0, 1, s3
	v_and_or_b32 v8, 0xffe, v24, v8
	v_bfe_u32 v24, v25, 20, 11
	s_delay_alu instid0(VALU_DEP_2) | instskip(NEXT) | instid1(VALU_DEP_2)
	v_or_b32_e32 v30, 0x1000, v8
	v_sub_nc_u32_e32 v29, 0x3f1, v24
	v_add_nc_u32_e32 v24, 0xfffffc10, v24
	v_cmp_ne_u32_e64 s4, 0, v8
	s_delay_alu instid0(VALU_DEP_3) | instskip(NEXT) | instid1(VALU_DEP_1)
	v_med3_i32 v29, v29, 0, 13
	v_lshrrev_b32_e32 v31, v29, v30
	s_delay_alu instid0(VALU_DEP_1) | instskip(NEXT) | instid1(VALU_DEP_1)
	v_lshlrev_b32_e32 v29, v29, v31
	v_cmp_ne_u32_e64 s3, v29, v30
	v_lshl_or_b32 v30, v24, 12, v8
	s_wait_alu 0xf1ff
	s_delay_alu instid0(VALU_DEP_2) | instskip(SKIP_1) | instid1(VALU_DEP_2)
	v_cndmask_b32_e64 v29, 0, 1, s3
	v_cmp_gt_i32_e64 s3, 1, v24
	v_or_b32_e32 v29, v31, v29
	scratch_load_b32 v31, off, off offset:156 th:TH_LOAD_LU ; 4-byte Folded Reload
	s_wait_alu 0xf1ff
	v_cndmask_b32_e64 v29, v30, v29, s3
	v_cndmask_b32_e64 v30, 0, 1, s0
	v_cmp_gt_i32_e64 s0, 1, v11
	s_delay_alu instid0(VALU_DEP_2) | instskip(SKIP_2) | instid1(VALU_DEP_1)
	v_or_b32_e32 v12, v12, v30
	v_lshl_or_b32 v30, v11, 12, v2
	s_wait_alu 0xf1ff
	v_cndmask_b32_e64 v12, v30, v12, s0
	v_and_b32_e32 v30, 7, v29
	s_delay_alu instid0(VALU_DEP_2) | instskip(NEXT) | instid1(VALU_DEP_2)
	v_and_b32_e32 v8, 7, v12
	v_cmp_lt_i32_e64 s0, 5, v30
	v_cmp_eq_u32_e64 s3, 3, v30
	v_lshrrev_b32_e32 v12, 2, v12
	s_delay_alu instid0(VALU_DEP_4) | instskip(SKIP_4) | instid1(VALU_DEP_3)
	v_cmp_lt_i32_e64 s5, 5, v8
	v_cmp_eq_u32_e64 s6, 3, v8
	v_lshrrev_b32_e32 v8, 2, v29
	s_or_b32 s0, s3, s0
	v_cndmask_b32_e64 v29, 0, 1, s4
	s_or_b32 s3, s6, s5
	s_wait_alu 0xfffe
	v_add_co_ci_u32_e64 v8, s0, 0, v8, s0
	v_cmp_gt_i32_e64 s0, 31, v24
	v_lshl_or_b32 v29, v29, 9, 0x7c00
	v_add_co_ci_u32_e64 v12, s3, 0, v12, s3
	v_cmp_gt_i32_e64 s3, 31, v11
	s_wait_alu 0xf1ff
	v_cndmask_b32_e64 v8, 0x7c00, v8, s0
	v_cmp_eq_u32_e64 s0, 0x40f, v24
	s_delay_alu instid0(VALU_DEP_3) | instskip(SKIP_1) | instid1(VALU_DEP_2)
	v_cndmask_b32_e64 v12, 0x7c00, v12, s3
	s_wait_alu 0xf1ff
	v_cndmask_b32_e64 v8, v8, v29, s0
	v_cmp_ne_u32_e64 s0, 0, v2
	v_lshrrev_b32_e32 v2, 16, v25
	s_wait_alu 0xf1ff
	s_delay_alu instid0(VALU_DEP_2) | instskip(SKIP_1) | instid1(VALU_DEP_3)
	v_cndmask_b32_e64 v24, 0, 1, s0
	v_cmp_eq_u32_e64 s0, 0x40f, v11
	v_and_or_b32 v2, 0x8000, v2, v8
	s_delay_alu instid0(VALU_DEP_3) | instskip(NEXT) | instid1(VALU_DEP_2)
	v_lshl_or_b32 v24, v24, 9, 0x7c00
	v_and_b32_e32 v2, 0xffff, v2
	s_wait_alu 0xf1ff
	s_delay_alu instid0(VALU_DEP_2) | instskip(NEXT) | instid1(VALU_DEP_1)
	v_cndmask_b32_e64 v11, v12, v24, s0
	v_and_or_b32 v3, 0x8000, v3, v11
	v_add_co_u32 v11, s0, v20, s8
	s_wait_alu 0xf1ff
	v_add_co_ci_u32_e64 v12, s0, s9, v21, s0
	s_delay_alu instid0(VALU_DEP_3) | instskip(SKIP_2) | instid1(VALU_DEP_1)
	v_lshl_or_b32 v2, v3, 16, v2
	global_store_b32 v[20:21], v2, off
	v_cvt_f32_f16_e32 v2, v28
	v_cvt_f64_f32_e32 v[2:3], v2
	s_delay_alu instid0(VALU_DEP_1) | instskip(NEXT) | instid1(VALU_DEP_1)
	v_mul_f64_e32 v[2:3], s[10:11], v[2:3]
	v_and_or_b32 v2, 0x1ff, v3, v2
	v_lshrrev_b32_e32 v8, 8, v3
	v_bfe_u32 v24, v3, 20, 11
	s_delay_alu instid0(VALU_DEP_3) | instskip(SKIP_1) | instid1(VALU_DEP_1)
	v_cmp_ne_u32_e64 s0, 0, v2
	s_wait_alu 0xf1ff
	v_cndmask_b32_e64 v2, 0, 1, s0
	s_delay_alu instid0(VALU_DEP_1) | instskip(SKIP_1) | instid1(VALU_DEP_2)
	v_and_or_b32 v2, 0xffe, v8, v2
	v_sub_nc_u32_e32 v8, 0x3f1, v24
	v_or_b32_e32 v20, 0x1000, v2
	s_delay_alu instid0(VALU_DEP_2) | instskip(NEXT) | instid1(VALU_DEP_1)
	v_med3_i32 v8, v8, 0, 13
	v_lshrrev_b32_e32 v25, v8, v20
	s_delay_alu instid0(VALU_DEP_1) | instskip(NEXT) | instid1(VALU_DEP_1)
	v_lshlrev_b32_e32 v8, v8, v25
	v_cmp_ne_u32_e64 s0, v8, v20
	scratch_load_b32 v8, off, off offset:152 th:TH_LOAD_LU ; 4-byte Folded Reload
	s_wait_loadcnt 0x0
	v_mul_f16_e32 v28, v8, v22
	s_delay_alu instid0(VALU_DEP_1) | instskip(SKIP_2) | instid1(VALU_DEP_1)
	v_fmac_f16_e32 v28, v31, v23
	v_mul_f16_e32 v23, v8, v23
	v_cvt_f32_f16_e32 v8, v27
	v_cvt_f64_f32_e32 v[20:21], v8
	s_delay_alu instid0(VALU_DEP_1) | instskip(NEXT) | instid1(VALU_DEP_1)
	v_mul_f64_e32 v[20:21], s[10:11], v[20:21]
	v_and_or_b32 v8, 0x1ff, v21, v20
	v_lshrrev_b32_e32 v20, 8, v21
	s_delay_alu instid0(VALU_DEP_2) | instskip(SKIP_1) | instid1(VALU_DEP_1)
	v_cmp_ne_u32_e64 s3, 0, v8
	s_wait_alu 0xf1ff
	v_cndmask_b32_e64 v8, 0, 1, s3
	s_delay_alu instid0(VALU_DEP_1) | instskip(SKIP_1) | instid1(VALU_DEP_2)
	v_and_or_b32 v8, 0xffe, v20, v8
	v_bfe_u32 v20, v21, 20, 11
	v_or_b32_e32 v29, 0x1000, v8
	s_delay_alu instid0(VALU_DEP_2) | instskip(SKIP_1) | instid1(VALU_DEP_2)
	v_sub_nc_u32_e32 v27, 0x3f1, v20
	v_add_nc_u32_e32 v20, 0xfffffc10, v20
	v_med3_i32 v27, v27, 0, 13
	s_delay_alu instid0(VALU_DEP_1) | instskip(NEXT) | instid1(VALU_DEP_1)
	v_lshrrev_b32_e32 v30, v27, v29
	v_lshlrev_b32_e32 v27, v27, v30
	s_delay_alu instid0(VALU_DEP_1) | instskip(SKIP_2) | instid1(VALU_DEP_2)
	v_cmp_ne_u32_e64 s3, v27, v29
	v_lshl_or_b32 v29, v20, 12, v8
	s_wait_alu 0xf1ff
	v_cndmask_b32_e64 v27, 0, 1, s3
	v_cmp_gt_i32_e64 s3, 1, v20
	s_delay_alu instid0(VALU_DEP_2) | instskip(SKIP_1) | instid1(VALU_DEP_1)
	v_or_b32_e32 v27, v30, v27
	s_wait_alu 0xf1ff
	v_cndmask_b32_e64 v27, v29, v27, s3
	s_delay_alu instid0(VALU_DEP_1) | instskip(NEXT) | instid1(VALU_DEP_1)
	v_and_b32_e32 v29, 7, v27
	v_cmp_lt_i32_e64 s3, 5, v29
	v_cmp_eq_u32_e64 s4, 3, v29
	s_wait_alu 0xfffd
	v_cndmask_b32_e64 v29, 0, 1, vcc_lo
	v_cmp_ne_u32_e32 vcc_lo, 0, v8
	v_add_nc_u32_e32 v8, 0xfffffc10, v9
	s_or_b32 s3, s4, s3
	s_delay_alu instid0(VALU_DEP_3) | instskip(SKIP_1) | instid1(VALU_DEP_3)
	v_or_b32_e32 v10, v10, v29
	v_cmp_ne_u32_e64 s4, 0, v0
	v_lshl_or_b32 v9, v8, 12, v0
	v_cmp_gt_i32_e64 s5, 1, v8
	s_clause 0x1
	scratch_load_b32 v29, off, off offset:116 th:TH_LOAD_LU
	scratch_load_b32 v32, off, off offset:108 th:TH_LOAD_LU
	s_wait_alu 0xf1ff
	v_cndmask_b32_e64 v9, v9, v10, s5
	v_lshrrev_b32_e32 v10, 2, v27
	s_wait_alu 0xfffd
	v_cndmask_b32_e64 v27, 0, 1, vcc_lo
	v_cmp_eq_u32_e32 vcc_lo, 0x40f, v20
	v_lshrrev_b32_e32 v0, 2, v9
	s_wait_alu 0xfffe
	v_add_co_ci_u32_e64 v10, s3, 0, v10, s3
	v_cmp_gt_i32_e64 s3, 31, v20
	v_lshl_or_b32 v27, v27, 9, 0x7c00
	v_and_b32_e32 v20, 7, v9
	v_cndmask_b32_e64 v9, 0, 1, s4
	s_wait_alu 0xf1ff
	v_cndmask_b32_e64 v10, 0x7c00, v10, s3
	s_delay_alu instid0(VALU_DEP_3) | instskip(NEXT) | instid1(VALU_DEP_3)
	v_cmp_eq_u32_e64 s3, 3, v20
	v_lshl_or_b32 v9, v9, 9, 0x7c00
	s_wait_alu 0xfffd
	s_delay_alu instid0(VALU_DEP_3)
	v_cndmask_b32_e32 v10, v10, v27, vcc_lo
	v_cmp_lt_i32_e32 vcc_lo, 5, v20
	v_lshrrev_b32_e32 v20, 16, v21
	scratch_load_b32 v27, off, off offset:128 th:TH_LOAD_LU ; 4-byte Folded Reload
	s_or_b32 vcc_lo, s3, vcc_lo
	s_wait_alu 0xfffe
	v_add_co_ci_u32_e32 v0, vcc_lo, 0, v0, vcc_lo
	v_cmp_gt_i32_e32 vcc_lo, 31, v8
	s_wait_alu 0xfffd
	s_delay_alu instid0(VALU_DEP_2) | instskip(SKIP_3) | instid1(VALU_DEP_3)
	v_cndmask_b32_e32 v0, 0x7c00, v0, vcc_lo
	v_cmp_eq_u32_e32 vcc_lo, 0x40f, v8
	v_and_or_b32 v8, 0x8000, v20, v10
	s_wait_alu 0xfffd
	v_cndmask_b32_e32 v0, v0, v9, vcc_lo
	s_delay_alu instid0(VALU_DEP_1) | instskip(NEXT) | instid1(VALU_DEP_3)
	v_and_or_b32 v0, 0x8000, v1, v0
	v_and_b32_e32 v1, 0xffff, v8
	v_add_co_u32 v8, vcc_lo, v11, s14
	s_wait_alu 0xfffd
	v_add_co_ci_u32_e32 v9, vcc_lo, s15, v12, vcc_lo
	s_delay_alu instid0(VALU_DEP_3) | instskip(SKIP_4) | instid1(VALU_DEP_1)
	v_lshl_or_b32 v0, v0, 16, v1
	global_store_b32 v[11:12], v0, off
	v_cvt_f32_f16_e32 v0, v26
	scratch_load_b32 v26, off, off offset:132 th:TH_LOAD_LU ; 4-byte Folded Reload
	v_cvt_f64_f32_e32 v[0:1], v0
	v_mul_f64_e32 v[0:1], s[10:11], v[0:1]
	s_delay_alu instid0(VALU_DEP_1) | instskip(SKIP_1) | instid1(VALU_DEP_2)
	v_and_or_b32 v0, 0x1ff, v1, v0
	v_lshrrev_b32_e32 v10, 8, v1
	v_cmp_ne_u32_e32 vcc_lo, 0, v0
	s_wait_alu 0xfffd
	v_cndmask_b32_e64 v0, 0, 1, vcc_lo
	s_delay_alu instid0(VALU_DEP_1) | instskip(SKIP_2) | instid1(VALU_DEP_3)
	v_and_or_b32 v0, 0xffe, v10, v0
	v_bfe_u32 v10, v1, 20, 11
	v_lshrrev_b32_e32 v1, 16, v1
	v_or_b32_e32 v12, 0x1000, v0
	s_delay_alu instid0(VALU_DEP_3) | instskip(SKIP_2) | instid1(VALU_DEP_3)
	v_sub_nc_u32_e32 v11, 0x3f1, v10
	v_add_nc_u32_e32 v10, 0xfffffc10, v10
	v_cmp_ne_u32_e64 s3, 0, v0
	v_med3_i32 v11, v11, 0, 13
	s_delay_alu instid0(VALU_DEP_1) | instskip(NEXT) | instid1(VALU_DEP_1)
	v_lshrrev_b32_e32 v20, v11, v12
	v_lshlrev_b32_e32 v11, v11, v20
	s_delay_alu instid0(VALU_DEP_1) | instskip(SKIP_4) | instid1(VALU_DEP_2)
	v_cmp_ne_u32_e32 vcc_lo, v11, v12
	v_lshl_or_b32 v12, v10, 12, v0
	s_wait_alu 0xfffd
	v_cndmask_b32_e64 v11, 0, 1, vcc_lo
	v_cmp_gt_i32_e32 vcc_lo, 1, v10
	v_or_b32_e32 v11, v20, v11
	s_wait_alu 0xfffd
	s_delay_alu instid0(VALU_DEP_1) | instskip(SKIP_2) | instid1(VALU_DEP_2)
	v_cndmask_b32_e32 v11, v12, v11, vcc_lo
	v_cndmask_b32_e64 v12, 0, 1, s2
	v_cmp_gt_i32_e32 vcc_lo, 1, v16
	v_or_b32_e32 v12, v17, v12
	v_lshl_or_b32 v17, v16, 12, v15
	s_wait_alu 0xfffd
	s_delay_alu instid0(VALU_DEP_1) | instskip(NEXT) | instid1(VALU_DEP_1)
	v_dual_cndmask_b32 v12, v17, v12 :: v_dual_and_b32 v17, 7, v11
	v_and_b32_e32 v0, 7, v12
	s_delay_alu instid0(VALU_DEP_2)
	v_cmp_lt_i32_e32 vcc_lo, 5, v17
	v_cmp_eq_u32_e64 s2, 3, v17
	scratch_load_b32 v17, off, off offset:148 th:TH_LOAD_LU ; 4-byte Folded Reload
	v_cmp_lt_i32_e64 s4, 5, v0
	v_cmp_eq_u32_e64 s5, 3, v0
	v_lshrrev_b32_e32 v0, 2, v11
	s_or_b32 vcc_lo, s2, vcc_lo
	v_cndmask_b32_e64 v11, 0, 1, s3
	s_delay_alu instid0(VALU_DEP_3)
	s_or_b32 s2, s5, s4
	s_wait_alu 0xfffe
	v_add_co_ci_u32_e32 v0, vcc_lo, 0, v0, vcc_lo
	v_cmp_gt_i32_e32 vcc_lo, 31, v10
	v_lshl_or_b32 v11, v11, 9, 0x7c00
	s_wait_alu 0xfffd
	s_delay_alu instid0(VALU_DEP_3)
	v_cndmask_b32_e32 v0, 0x7c00, v0, vcc_lo
	v_cmp_eq_u32_e32 vcc_lo, 0x40f, v10
	v_lshrrev_b32_e32 v10, 2, v12
	v_cvt_f32_f16_e32 v12, v19
	s_wait_alu 0xfffd
	v_cndmask_b32_e32 v0, v0, v11, vcc_lo
	v_cmp_ne_u32_e32 vcc_lo, 0, v15
	scratch_load_b32 v15, off, off offset:144 th:TH_LOAD_LU ; 4-byte Folded Reload
	v_add_co_ci_u32_e64 v10, s2, 0, v10, s2
	v_cmp_gt_i32_e64 s2, 31, v16
	s_wait_alu 0xfffd
	v_cndmask_b32_e64 v11, 0, 1, vcc_lo
	v_cmp_eq_u32_e32 vcc_lo, 0x40f, v16
	v_and_or_b32 v0, 0x8000, v1, v0
	s_wait_alu 0xf1ff
	v_cndmask_b32_e64 v10, 0x7c00, v10, s2
	v_lshl_or_b32 v11, v11, 9, 0x7c00
	s_delay_alu instid0(VALU_DEP_3) | instskip(SKIP_1) | instid1(VALU_DEP_2)
	v_and_b32_e32 v0, 0xffff, v0
	s_wait_alu 0xfffd
	v_cndmask_b32_e32 v10, v10, v11, vcc_lo
	s_delay_alu instid0(VALU_DEP_1) | instskip(SKIP_3) | instid1(VALU_DEP_4)
	v_and_or_b32 v1, 0x8000, v7, v10
	v_cvt_f32_f16_e32 v10, v18
	v_add_co_u32 v7, vcc_lo, v8, s14
	v_cvt_f32_f16_e32 v18, v28
	v_lshl_or_b32 v1, v1, 16, v0
	s_delay_alu instid0(VALU_DEP_4)
	v_cvt_f64_f32_e32 v[10:11], v10
	v_fma_f16 v0, v31, v22, -v23
	scratch_load_b32 v31, off, off offset:120 th:TH_LOAD_LU ; 4-byte Folded Reload
	global_store_b32 v[8:9], v1, off
	v_lshrrev_b32_e32 v1, 16, v6
	s_wait_alu 0xfffd
	v_add_co_ci_u32_e32 v8, vcc_lo, s15, v9, vcc_lo
	v_cvt_f32_f16_e32 v0, v0
	v_mul_f64_e32 v[10:11], s[10:11], v[10:11]
	s_delay_alu instid0(VALU_DEP_1) | instskip(NEXT) | instid1(VALU_DEP_1)
	v_and_or_b32 v10, 0x1ff, v11, v10
	v_cmp_ne_u32_e32 vcc_lo, 0, v10
	s_wait_alu 0xfffd
	v_cndmask_b32_e64 v10, 0, 1, vcc_lo
	s_wait_loadcnt 0x1
	v_mul_f16_e32 v9, v15, v1
	s_delay_alu instid0(VALU_DEP_1) | instskip(SKIP_2) | instid1(VALU_DEP_3)
	v_fmac_f16_e32 v9, v17, v6
	v_mul_f16_e32 v6, v15, v6
	v_cvt_f64_f32_e32 v[15:16], v12
	v_cvt_f32_f16_e32 v9, v9
	s_delay_alu instid0(VALU_DEP_3) | instskip(SKIP_1) | instid1(VALU_DEP_2)
	v_fma_f16 v1, v17, v1, -v6
	v_lshrrev_b32_e32 v6, 8, v11
	v_cvt_f32_f16_e32 v1, v1
	s_delay_alu instid0(VALU_DEP_2) | instskip(SKIP_1) | instid1(VALU_DEP_1)
	v_and_or_b32 v10, 0xffe, v6, v10
	v_mul_f64_e32 v[15:16], s[10:11], v[15:16]
	v_and_or_b32 v12, 0x1ff, v16, v15
	v_bfe_u32 v21, v16, 20, 11
	s_delay_alu instid0(VALU_DEP_2) | instskip(SKIP_3) | instid1(VALU_DEP_1)
	v_cmp_ne_u32_e32 vcc_lo, 0, v12
	v_lshrrev_b32_e32 v12, 8, v16
	s_wait_alu 0xfffd
	v_cndmask_b32_e64 v6, 0, 1, vcc_lo
	v_and_or_b32 v17, 0xffe, v12, v6
	v_cndmask_b32_e64 v6, 0, 1, s1
	v_add_nc_u32_e32 v12, 0xfffffc10, v13
	s_delay_alu instid0(VALU_DEP_2) | instskip(NEXT) | instid1(VALU_DEP_2)
	v_or_b32_e32 v6, v14, v6
	v_lshl_or_b32 v13, v12, 12, v4
	v_cmp_gt_i32_e32 vcc_lo, 1, v12
	v_add_nc_u32_e32 v14, 0xfffffc10, v24
	scratch_load_b32 v24, off, off offset:136 th:TH_LOAD_LU ; 4-byte Folded Reload
	s_wait_alu 0xfffd
	v_cndmask_b32_e32 v6, v13, v6, vcc_lo
	v_cndmask_b32_e64 v13, 0, 1, s0
	v_lshl_or_b32 v15, v14, 12, v2
	v_cmp_gt_i32_e32 vcc_lo, 1, v14
	s_delay_alu instid0(VALU_DEP_3)
	v_or_b32_e32 v13, v25, v13
	scratch_load_b32 v25, off, off offset:140 th:TH_LOAD_LU ; 4-byte Folded Reload
	s_wait_alu 0xfffd
	v_cndmask_b32_e32 v13, v15, v13, vcc_lo
	v_and_b32_e32 v15, 7, v6
	v_lshrrev_b32_e32 v6, 2, v6
	s_delay_alu instid0(VALU_DEP_3) | instskip(NEXT) | instid1(VALU_DEP_3)
	v_lshrrev_b32_e32 v20, 2, v13
	v_cmp_lt_i32_e32 vcc_lo, 5, v15
	v_cmp_eq_u32_e64 s0, 3, v15
	v_and_b32_e32 v15, 7, v13
	s_delay_alu instid0(VALU_DEP_2)
	s_or_b32 vcc_lo, s0, vcc_lo
	v_cmp_gt_i32_e64 s0, 31, v12
	s_wait_alu 0xfffe
	v_add_co_ci_u32_e32 v6, vcc_lo, 0, v6, vcc_lo
	v_cmp_ne_u32_e32 vcc_lo, 0, v4
	v_cmp_lt_i32_e64 s1, 5, v15
	s_wait_alu 0xf1ff
	s_delay_alu instid0(VALU_DEP_3)
	v_cndmask_b32_e64 v6, 0x7c00, v6, s0
	v_cmp_eq_u32_e64 s0, 0x40f, v12
	s_wait_alu 0xfffd
	v_cndmask_b32_e64 v4, 0, 1, vcc_lo
	v_cmp_eq_u32_e32 vcc_lo, 3, v15
	v_bfe_u32 v15, v11, 20, 11
	s_delay_alu instid0(VALU_DEP_3) | instskip(SKIP_1) | instid1(VALU_DEP_2)
	v_lshl_or_b32 v4, v4, 9, 0x7c00
	s_or_b32 vcc_lo, vcc_lo, s1
	v_sub_nc_u32_e32 v12, 0x3f1, v15
	v_add_nc_u32_e32 v15, 0xfffffc10, v15
	v_cmp_ne_u32_e64 s1, 0, v10
	v_cndmask_b32_e64 v4, v6, v4, s0
	s_wait_alu 0xfffe
	v_add_co_ci_u32_e32 v6, vcc_lo, 0, v20, vcc_lo
	v_cmp_ne_u32_e32 vcc_lo, 0, v2
	v_med3_i32 v19, v12, 0, 13
	v_cvt_f64_f32_e32 v[12:13], v18
	v_or_b32_e32 v18, 0x1000, v10
	s_wait_alu 0xfffd
	v_cndmask_b32_e64 v2, 0, 1, vcc_lo
	v_cmp_gt_i32_e32 vcc_lo, 31, v14
	s_delay_alu instid0(VALU_DEP_2)
	v_lshl_or_b32 v2, v2, 9, 0x7c00
	s_wait_alu 0xfffd
	v_cndmask_b32_e32 v6, 0x7c00, v6, vcc_lo
	v_cmp_eq_u32_e32 vcc_lo, 0x40f, v14
	v_lshrrev_b32_e32 v14, v19, v18
	s_wait_alu 0xfffd
	s_delay_alu instid0(VALU_DEP_3) | instskip(NEXT) | instid1(VALU_DEP_2)
	v_cndmask_b32_e32 v20, v6, v2, vcc_lo
	v_lshlrev_b32_e32 v2, v19, v14
	v_lshrrev_b32_e32 v19, 16, v3
	v_sub_nc_u32_e32 v3, 0x3f1, v21
	v_add_nc_u32_e32 v21, 0xfffffc10, v21
	s_delay_alu instid0(VALU_DEP_4) | instskip(SKIP_1) | instid1(VALU_DEP_4)
	v_cmp_ne_u32_e32 vcc_lo, v2, v18
	v_cvt_f64_f32_e32 v[1:2], v1
	v_med3_i32 v3, v3, 0, 13
	v_and_or_b32 v18, 0x8000, v5, v4
	v_lshl_or_b32 v5, v15, 12, v10
	s_wait_alu 0xfffd
	v_cndmask_b32_e64 v6, 0, 1, vcc_lo
	v_cmp_gt_i32_e32 vcc_lo, 1, v15
	s_wait_alu 0xf1ff
	v_cndmask_b32_e64 v10, 0, 1, s1
	v_and_b32_e32 v18, 0xffff, v18
	v_cmp_gt_i32_e64 s1, 31, v15
	v_or_b32_e32 v4, v14, v6
	v_or_b32_e32 v14, 0x1000, v17
	v_lshl_or_b32 v10, v10, 9, 0x7c00
	s_wait_alu 0xfffd
	s_delay_alu instid0(VALU_DEP_3) | instskip(NEXT) | instid1(VALU_DEP_3)
	v_cndmask_b32_e32 v22, v5, v4, vcc_lo
	v_lshrrev_b32_e32 v23, v3, v14
	v_mul_f64_e32 v[5:6], s[10:11], v[12:13]
	v_lshl_or_b32 v13, v21, 12, v17
	s_delay_alu instid0(VALU_DEP_3) | instskip(NEXT) | instid1(VALU_DEP_1)
	v_lshlrev_b32_e32 v3, v3, v23
	v_cmp_ne_u32_e32 vcc_lo, v3, v14
	ds_load_2addr_b32 v[3:4], v144 offset0:116 offset1:241
	v_and_or_b32 v14, 0x8000, v19, v20
	v_and_b32_e32 v19, 7, v22
	s_wait_alu 0xfffd
	v_cndmask_b32_e64 v12, 0, 1, vcc_lo
	v_cmp_gt_i32_e32 vcc_lo, 1, v21
	s_delay_alu instid0(VALU_DEP_3) | instskip(NEXT) | instid1(VALU_DEP_3)
	v_cmp_eq_u32_e64 s0, 3, v19
	v_or_b32_e32 v12, v23, v12
	v_mul_f64_e32 v[1:2], s[10:11], v[1:2]
	s_wait_alu 0xfffd
	s_delay_alu instid0(VALU_DEP_2)
	v_cndmask_b32_e32 v20, v13, v12, vcc_lo
	v_cvt_f64_f32_e32 v[12:13], v0
	v_cmp_lt_i32_e32 vcc_lo, 5, v19
	v_lshl_or_b32 v0, v14, 16, v18
	v_lshrrev_b32_e32 v14, 2, v22
	v_and_b32_e32 v18, 7, v20
	s_wait_dscnt 0x0
	v_lshrrev_b32_e32 v19, 16, v3
	s_or_b32 vcc_lo, s0, vcc_lo
	global_store_b32 v[7:8], v0, off
	s_wait_alu 0xfffe
	v_add_co_ci_u32_e32 v14, vcc_lo, 0, v14, vcc_lo
	v_cmp_lt_i32_e32 vcc_lo, 5, v18
	v_cmp_eq_u32_e64 s0, 3, v18
	s_delay_alu instid0(VALU_DEP_3) | instskip(SKIP_2) | instid1(VALU_DEP_4)
	v_cndmask_b32_e64 v14, 0x7c00, v14, s1
	v_cmp_eq_u32_e64 s1, 0x40f, v15
	v_lshrrev_b32_e32 v15, 2, v20
	s_or_b32 vcc_lo, s0, vcc_lo
	v_and_or_b32 v5, 0x1ff, v6, v5
	v_lshrrev_b32_e32 v23, 8, v6
	v_cndmask_b32_e64 v20, v14, v10, s1
	s_wait_alu 0xfffe
	v_add_co_ci_u32_e32 v10, vcc_lo, 0, v15, vcc_lo
	v_cmp_ne_u32_e32 vcc_lo, 0, v17
	s_wait_alu 0xfffd
	v_cndmask_b32_e64 v17, 0, 1, vcc_lo
	v_cmp_ne_u32_e32 vcc_lo, 0, v5
	v_lshrrev_b32_e32 v5, 16, v11
	s_delay_alu instid0(VALU_DEP_3) | instskip(NEXT) | instid1(VALU_DEP_2)
	v_lshl_or_b32 v17, v17, 9, 0x7c00
	v_and_or_b32 v5, 0x8000, v5, v20
	v_and_or_b32 v1, 0x1ff, v2, v1
	v_bfe_u32 v20, v2, 20, 11
	s_wait_loadcnt 0x0
	v_mul_f16_e32 v18, v25, v19
	s_delay_alu instid0(VALU_DEP_1) | instskip(SKIP_1) | instid1(VALU_DEP_2)
	v_fmac_f16_e32 v18, v24, v3
	v_mul_f16_e32 v3, v25, v3
	v_cvt_f32_f16_e32 v18, v18
	s_delay_alu instid0(VALU_DEP_2) | instskip(NEXT) | instid1(VALU_DEP_2)
	v_fma_f16 v3, v24, v19, -v3
	v_cvt_f64_f32_e32 v[14:15], v18
	s_wait_alu 0xfffd
	v_cndmask_b32_e64 v18, 0, 1, vcc_lo
	v_cmp_gt_i32_e32 vcc_lo, 31, v21
	v_cvt_f32_f16_e32 v3, v3
	s_delay_alu instid0(VALU_DEP_3)
	v_and_or_b32 v18, 0xffe, v23, v18
	s_wait_alu 0xfffd
	v_cndmask_b32_e32 v22, 0x7c00, v10, vcc_lo
	v_mul_f64_e32 v[10:11], s[10:11], v[12:13]
	v_cmp_eq_u32_e32 vcc_lo, 0x40f, v21
	v_lshrrev_b32_e32 v13, 16, v16
	v_lshrrev_b32_e32 v16, 8, v2
	;; [unrolled: 1-line block ×3, first 2 shown]
	s_wait_alu 0xfffd
	v_cndmask_b32_e32 v12, v22, v17, vcc_lo
	v_cmp_ne_u32_e32 vcc_lo, 0, v1
	v_bfe_u32 v17, v6, 20, 11
	v_lshrrev_b32_e32 v6, 16, v6
	s_delay_alu instid0(VALU_DEP_4)
	v_and_or_b32 v0, 0x8000, v13, v12
	s_wait_alu 0xfffd
	v_cndmask_b32_e64 v1, 0, 1, vcc_lo
	v_and_b32_e32 v12, 0xffff, v5
	v_add_co_u32 v7, vcc_lo, v7, s8
	s_wait_alu 0xfffd
	v_add_co_ci_u32_e32 v8, vcc_lo, s9, v8, vcc_lo
	v_and_or_b32 v5, 0xffe, v16, v1
	v_sub_nc_u32_e32 v1, 0x3f1, v20
	v_lshl_or_b32 v0, v0, 16, v12
	v_sub_nc_u32_e32 v13, 0x3f1, v17
	v_add_co_u32 v12, vcc_lo, v7, s14
	s_delay_alu instid0(VALU_DEP_4)
	v_med3_i32 v16, v1, 0, 13
	v_or_b32_e32 v21, 0x1000, v5
	global_store_b32 v[7:8], v0, off
	v_med3_i32 v22, v13, 0, 13
	s_wait_alu 0xfffd
	v_add_co_ci_u32_e32 v13, vcc_lo, s15, v8, vcc_lo
	v_mul_f64_e32 v[0:1], s[10:11], v[14:15]
	v_lshrrev_b32_e32 v23, v16, v21
	v_or_b32_e32 v7, 0x1000, v18
	v_add_nc_u32_e32 v17, 0xfffffc10, v17
	s_delay_alu instid0(VALU_DEP_3) | instskip(NEXT) | instid1(VALU_DEP_3)
	v_lshlrev_b32_e32 v8, v16, v23
	v_lshrrev_b32_e32 v14, v22, v7
	v_bfe_u32 v15, v11, 20, 11
	s_delay_alu instid0(VALU_DEP_3) | instskip(SKIP_1) | instid1(VALU_DEP_4)
	v_cmp_ne_u32_e32 vcc_lo, v8, v21
	v_and_or_b32 v8, 0x1ff, v11, v10
	v_lshlrev_b32_e32 v10, v22, v14
	s_delay_alu instid0(VALU_DEP_4) | instskip(NEXT) | instid1(VALU_DEP_3)
	v_add_nc_u32_e32 v21, 0xfffffc10, v15
	v_cmp_ne_u32_e64 s0, 0, v8
	s_delay_alu instid0(VALU_DEP_2) | instskip(SKIP_1) | instid1(VALU_DEP_2)
	v_cmp_gt_i32_e64 s2, 1, v21
	s_wait_alu 0xf1ff
	v_cndmask_b32_e64 v8, 0, 1, s0
	v_cmp_ne_u32_e64 s0, v10, v7
	v_lshrrev_b32_e32 v7, 8, v11
	v_sub_nc_u32_e32 v10, 0x3f1, v15
	v_lshrrev_b32_e32 v11, 16, v11
	s_delay_alu instid0(VALU_DEP_3)
	v_and_or_b32 v16, 0xffe, v7, v8
	s_wait_alu 0xf1ff
	v_cndmask_b32_e64 v7, 0, 1, s0
	v_med3_i32 v8, v10, 0, 13
	v_cmp_gt_i32_e64 s0, 1, v17
	v_or_b32_e32 v10, 0x1000, v16
	s_delay_alu instid0(VALU_DEP_4) | instskip(SKIP_2) | instid1(VALU_DEP_4)
	v_or_b32_e32 v7, v14, v7
	v_lshl_or_b32 v14, v17, 12, v18
	v_and_or_b32 v0, 0x1ff, v1, v0
	v_lshrrev_b32_e32 v19, v8, v10
	s_wait_alu 0xf1ff
	s_delay_alu instid0(VALU_DEP_3) | instskip(NEXT) | instid1(VALU_DEP_3)
	v_cndmask_b32_e64 v14, v14, v7, s0
	v_cmp_ne_u32_e64 s0, 0, v0
	s_delay_alu instid0(VALU_DEP_3) | instskip(NEXT) | instid1(VALU_DEP_3)
	v_lshlrev_b32_e32 v7, v8, v19
	v_and_b32_e32 v8, 7, v14
	v_lshrrev_b32_e32 v14, 2, v14
	s_wait_alu 0xf1ff
	v_cndmask_b32_e64 v0, 0, 1, s0
	v_cmp_ne_u32_e64 s0, v7, v10
	v_lshrrev_b32_e32 v7, 8, v1
	v_cmp_lt_i32_e64 s1, 5, v8
	s_wait_alu 0xf1ff
	s_delay_alu instid0(VALU_DEP_3) | instskip(NEXT) | instid1(VALU_DEP_3)
	v_cndmask_b32_e64 v10, 0, 1, s0
	v_and_or_b32 v0, 0xffe, v7, v0
	v_cmp_eq_u32_e64 s0, 3, v8
	v_cvt_f64_f32_e32 v[7:8], v9
	s_delay_alu instid0(VALU_DEP_4) | instskip(SKIP_1) | instid1(VALU_DEP_4)
	v_or_b32_e32 v9, v19, v10
	v_lshl_or_b32 v10, v21, 12, v16
	s_or_b32 s0, s0, s1
	s_wait_alu 0xfffe
	v_add_co_ci_u32_e64 v14, s0, 0, v14, s0
	s_delay_alu instid0(VALU_DEP_2) | instskip(SKIP_3) | instid1(VALU_DEP_1)
	v_cndmask_b32_e64 v19, v10, v9, s2
	ds_load_2addr_b32 v[9:10], v245 offset0:86 offset1:211
	v_cmp_ne_u32_e64 s0, 0, v18
	s_wait_alu 0xf1ff
	v_cndmask_b32_e64 v15, 0, 1, s0
	v_cmp_gt_i32_e64 s0, 31, v17
	s_delay_alu instid0(VALU_DEP_2) | instskip(SKIP_1) | instid1(VALU_DEP_2)
	v_lshl_or_b32 v15, v15, 9, 0x7c00
	s_wait_alu 0xf1ff
	v_cndmask_b32_e64 v14, 0x7c00, v14, s0
	v_cmp_eq_u32_e64 s0, 0x40f, v17
	s_wait_alu 0xf1ff
	s_delay_alu instid0(VALU_DEP_1) | instskip(SKIP_3) | instid1(VALU_DEP_3)
	v_cndmask_b32_e64 v22, v14, v15, s0
	v_and_b32_e32 v14, 7, v19
	s_wait_dscnt 0x0
	v_lshrrev_b32_e32 v24, 16, v9
	v_and_or_b32 v6, 0x8000, v6, v22
	s_delay_alu instid0(VALU_DEP_3) | instskip(NEXT) | instid1(VALU_DEP_3)
	v_cmp_lt_i32_e64 s0, 5, v14
	v_mul_f16_e32 v17, v26, v24
	v_cmp_eq_u32_e64 s1, 3, v14
	v_cvt_f64_f32_e32 v[14:15], v3
	v_lshrrev_b32_e32 v3, 2, v19
	v_mul_f64_e32 v[7:8], s[10:11], v[7:8]
	v_fmac_f16_e32 v17, v27, v9
	s_or_b32 s0, s1, s0
	v_or_b32_e32 v22, 0x1000, v0
	s_wait_alu 0xfffe
	v_add_co_ci_u32_e64 v3, s0, 0, v3, s0
	v_cvt_f32_f16_e32 v17, v17
	v_cmp_ne_u32_e64 s0, 0, v16
	v_and_b32_e32 v6, 0xffff, v6
	v_mul_f16_e32 v9, v26, v9
	s_delay_alu instid0(VALU_DEP_4) | instskip(SKIP_4) | instid1(VALU_DEP_3)
	v_cvt_f64_f32_e32 v[17:18], v17
	s_wait_alu 0xf1ff
	v_cndmask_b32_e64 v16, 0, 1, s0
	v_cmp_gt_i32_e64 s0, 31, v21
	v_fma_f16 v9, v27, v24, -v9
	v_lshl_or_b32 v16, v16, 9, 0x7c00
	s_wait_alu 0xf1ff
	s_delay_alu instid0(VALU_DEP_3)
	v_cndmask_b32_e64 v3, 0x7c00, v3, s0
	v_cmp_eq_u32_e64 s0, 0x40f, v21
	v_bfe_u32 v21, v1, 20, 11
	v_cvt_f32_f16_e32 v9, v9
	v_lshrrev_b32_e32 v1, 16, v1
	s_wait_alu 0xf1ff
	v_cndmask_b32_e64 v3, v3, v16, s0
	v_sub_nc_u32_e32 v16, 0x3f1, v21
	s_delay_alu instid0(VALU_DEP_2) | instskip(NEXT) | instid1(VALU_DEP_2)
	v_and_or_b32 v3, 0x8000, v11, v3
	v_med3_i32 v19, v16, 0, 13
	s_delay_alu instid0(VALU_DEP_2) | instskip(NEXT) | instid1(VALU_DEP_2)
	v_lshl_or_b32 v3, v3, 16, v6
	v_lshrrev_b32_e32 v25, v19, v22
	v_mul_f64_e32 v[15:16], s[10:11], v[14:15]
	v_and_or_b32 v6, 0x1ff, v8, v7
	v_bfe_u32 v14, v8, 20, 11
	s_delay_alu instid0(VALU_DEP_4)
	v_lshlrev_b32_e32 v7, v19, v25
	global_store_b32 v[12:13], v3, off
	v_lshrrev_b32_e32 v3, 8, v8
	v_cmp_ne_u32_e64 s0, 0, v6
	v_lshrrev_b32_e32 v8, 16, v8
	s_wait_alu 0xf1ff
	s_delay_alu instid0(VALU_DEP_2)
	v_cndmask_b32_e64 v11, 0, 1, s0
	v_cmp_ne_u32_e64 s0, v7, v22
	v_mul_f64_e32 v[6:7], s[10:11], v[17:18]
	v_add_co_u32 v17, s1, v12, s14
	v_sub_nc_u32_e32 v12, 0x3f1, v14
	v_and_or_b32 v3, 0xffe, v3, v11
	s_wait_alu 0xf1ff
	v_add_co_ci_u32_e64 v18, s1, s15, v13, s1
	v_add_nc_u32_e32 v14, 0xfffffc10, v14
	v_med3_i32 v11, v12, 0, 13
	v_or_b32_e32 v12, 0x1000, v3
	s_delay_alu instid0(VALU_DEP_1) | instskip(NEXT) | instid1(VALU_DEP_1)
	v_lshrrev_b32_e32 v13, v11, v12
	v_lshlrev_b32_e32 v11, v11, v13
	v_and_or_b32 v15, 0x1ff, v16, v15
	s_delay_alu instid0(VALU_DEP_1) | instskip(SKIP_1) | instid1(VALU_DEP_1)
	v_cmp_ne_u32_e64 s1, 0, v15
	s_wait_alu 0xf1ff
	v_cndmask_b32_e64 v15, 0, 1, s1
	v_cmp_ne_u32_e64 s1, v11, v12
	v_lshrrev_b32_e32 v11, 8, v16
	v_and_or_b32 v6, 0x1ff, v7, v6
	s_wait_alu 0xf1ff
	s_delay_alu instid0(VALU_DEP_3) | instskip(NEXT) | instid1(VALU_DEP_3)
	v_cndmask_b32_e64 v12, 0, 1, s1
	v_and_or_b32 v22, 0xffe, v11, v15
	s_delay_alu instid0(VALU_DEP_3) | instskip(NEXT) | instid1(VALU_DEP_3)
	v_cmp_ne_u32_e64 s1, 0, v6
	v_or_b32_e32 v11, v13, v12
	v_lshl_or_b32 v12, v14, 12, v3
	v_add_nc_u32_e32 v13, 0xfffffc10, v20
	s_wait_alu 0xf1ff
	v_cndmask_b32_e64 v6, 0, 1, s1
	v_cmp_gt_i32_e64 s1, 1, v14
	s_wait_alu 0xf1ff
	s_delay_alu instid0(VALU_DEP_1) | instskip(SKIP_1) | instid1(VALU_DEP_1)
	v_cndmask_b32_e64 v11, v12, v11, s1
	v_lshrrev_b32_e32 v12, 8, v7
	v_and_or_b32 v19, 0xffe, v12, v6
	s_delay_alu instid0(VALU_DEP_3) | instskip(SKIP_2) | instid1(VALU_DEP_3)
	v_and_b32_e32 v6, 7, v11
	v_lshrrev_b32_e32 v11, 2, v11
	v_lshl_or_b32 v12, v13, 12, v5
	v_cmp_lt_i32_e64 s1, 5, v6
	v_cmp_eq_u32_e64 s2, 3, v6
	s_wait_alu 0xfffd
	v_cndmask_b32_e64 v6, 0, 1, vcc_lo
	s_delay_alu instid0(VALU_DEP_2) | instskip(NEXT) | instid1(VALU_DEP_1)
	s_or_b32 vcc_lo, s2, s1
	v_or_b32_e32 v6, v23, v6
	s_wait_alu 0xfffe
	v_add_co_ci_u32_e32 v15, vcc_lo, 0, v11, vcc_lo
	v_cmp_ne_u32_e32 vcc_lo, 0, v3
	v_lshrrev_b32_e32 v23, 16, v4
	s_wait_alu 0xfffd
	v_cndmask_b32_e64 v3, 0, 1, vcc_lo
	v_cmp_gt_i32_e32 vcc_lo, 1, v13
	s_delay_alu instid0(VALU_DEP_2)
	v_lshl_or_b32 v3, v3, 9, 0x7c00
	s_wait_alu 0xfffd
	v_cndmask_b32_e32 v6, v12, v6, vcc_lo
	v_cmp_gt_i32_e32 vcc_lo, 31, v14
	ds_load_2addr_b32 v[11:12], v130 offset0:56 offset1:181
	s_wait_alu 0xfffd
	v_cndmask_b32_e32 v15, 0x7c00, v15, vcc_lo
	v_cmp_eq_u32_e32 vcc_lo, 0x40f, v14
	v_and_b32_e32 v14, 7, v6
	s_wait_alu 0xfffd
	s_delay_alu instid0(VALU_DEP_3)
	v_cndmask_b32_e32 v20, v15, v3, vcc_lo
	scratch_load_b32 v3, off, off offset:124 th:TH_LOAD_LU ; 4-byte Folded Reload
	v_cmp_lt_i32_e32 vcc_lo, 5, v14
	v_cmp_eq_u32_e64 s1, 3, v14
	scratch_load_b32 v14, off, off offset:112 th:TH_LOAD_LU ; 4-byte Folded Reload
	v_and_or_b32 v8, 0x8000, v8, v20
	v_cndmask_b32_e64 v20, 0, 1, s0
	s_or_b32 vcc_lo, s1, vcc_lo
	s_delay_alu instid0(VALU_DEP_2)
	v_and_b32_e32 v8, 0xffff, v8
	s_wait_loadcnt 0x1
	v_mul_f16_e32 v24, v3, v23
	v_mul_f16_e32 v26, v3, v4
	s_wait_dscnt 0x0
	v_lshrrev_b32_e32 v3, 16, v11
	s_delay_alu instid0(VALU_DEP_3) | instskip(SKIP_2) | instid1(VALU_DEP_3)
	v_fmac_f16_e32 v24, v31, v4
	s_wait_loadcnt 0x0
	v_mul_f16_e32 v4, v14, v11
	v_mul_f16_e32 v27, v14, v3
	s_delay_alu instid0(VALU_DEP_2) | instskip(SKIP_1) | instid1(VALU_DEP_3)
	v_fma_f16 v28, v29, v3, -v4
	v_cvt_f64_f32_e32 v[3:4], v9
	v_fmac_f16_e32 v27, v29, v11
	v_bfe_u32 v29, v7, 20, 11
	v_lshrrev_b32_e32 v7, 16, v7
	s_delay_alu instid0(VALU_DEP_4) | instskip(SKIP_2) | instid1(VALU_DEP_1)
	v_mul_f64_e32 v[14:15], s[10:11], v[3:4]
	v_lshrrev_b32_e32 v3, 2, v6
	s_wait_alu 0xfffe
	v_add_co_ci_u32_e32 v3, vcc_lo, 0, v3, vcc_lo
	v_cmp_ne_u32_e32 vcc_lo, 0, v5
	v_bfe_u32 v5, v16, 20, 11
	s_wait_alu 0xfffd
	v_cndmask_b32_e64 v4, 0, 1, vcc_lo
	v_cmp_gt_i32_e32 vcc_lo, 31, v13
	s_delay_alu instid0(VALU_DEP_3) | instskip(SKIP_1) | instid1(VALU_DEP_4)
	v_sub_nc_u32_e32 v11, 0x3f1, v5
	v_add_nc_u32_e32 v30, 0xfffffc10, v5
	v_lshl_or_b32 v9, v4, 9, 0x7c00
	s_wait_alu 0xfffd
	v_cndmask_b32_e32 v6, 0x7c00, v3, vcc_lo
	v_cmp_eq_u32_e32 vcc_lo, 0x40f, v13
	v_cvt_f32_f16_e32 v3, v27
	v_med3_i32 v11, v11, 0, 13
	v_or_b32_e32 v13, 0x1000, v22
	v_add_nc_u32_e32 v27, 0xfffffc10, v21
	s_wait_alu 0xfffd
	v_cndmask_b32_e32 v6, v6, v9, vcc_lo
	v_lshl_or_b32 v21, v30, 12, v22
	v_cmp_gt_i32_e64 s0, 1, v30
	v_cvt_f64_f32_e32 v[3:4], v3
	v_cmp_gt_i32_e64 s1, 31, v27
	v_and_or_b32 v6, 0x8000, v2, v6
	v_and_or_b32 v9, 0x1ff, v15, v14
	v_lshrrev_b32_e32 v14, 8, v15
	s_delay_alu instid0(VALU_DEP_2) | instskip(SKIP_3) | instid1(VALU_DEP_2)
	v_cmp_ne_u32_e32 vcc_lo, 0, v9
	s_wait_alu 0xfffd
	v_cndmask_b32_e64 v9, 0, 1, vcc_lo
	v_cmp_gt_i32_e32 vcc_lo, 1, v27
	v_and_or_b32 v2, 0xffe, v14, v9
	v_or_b32_e32 v9, v25, v20
	v_lshl_or_b32 v14, v27, 12, v0
	v_lshl_or_b32 v25, v6, 16, v8
	v_lshrrev_b32_e32 v8, v11, v13
	v_sub_nc_u32_e32 v6, 0x3f1, v29
	s_wait_alu 0xfffd
	v_cndmask_b32_e32 v14, v14, v9, vcc_lo
	global_store_b32 v[17:18], v25, off
	v_lshlrev_b32_e32 v9, v11, v8
	v_cvt_f32_f16_e32 v11, v28
	v_med3_i32 v28, v6, 0, 13
	s_delay_alu instid0(VALU_DEP_3) | instskip(NEXT) | instid1(VALU_DEP_3)
	v_cmp_ne_u32_e32 vcc_lo, v9, v13
	v_cvt_f64_f32_e32 v[5:6], v11
	v_fma_f16 v11, v31, v23, -v26
	scratch_load_b32 v31, off, off offset:104 th:TH_LOAD_LU ; 4-byte Folded Reload
	v_and_b32_e32 v13, 7, v14
	s_wait_alu 0xfffd
	v_cndmask_b32_e64 v9, 0, 1, vcc_lo
	v_cvt_f32_f16_e32 v11, v11
	s_delay_alu instid0(VALU_DEP_3) | instskip(NEXT) | instid1(VALU_DEP_3)
	v_cmp_lt_i32_e32 vcc_lo, 5, v13
	v_or_b32_e32 v20, v8, v9
	v_mul_f64_e32 v[8:9], s[10:11], v[3:4]
	v_cvt_f32_f16_e32 v3, v24
	v_or_b32_e32 v24, 0x1000, v19
	s_wait_alu 0xf1ff
	v_cndmask_b32_e64 v23, v21, v20, s0
	v_cmp_eq_u32_e64 s0, 3, v13
	v_lshrrev_b32_e32 v13, 2, v14
	v_cvt_f64_f32_e32 v[20:21], v11
	v_cvt_f64_f32_e32 v[3:4], v3
	v_and_b32_e32 v14, 7, v23
	s_or_b32 vcc_lo, s0, vcc_lo
	v_lshrrev_b32_e32 v26, v28, v24
	s_wait_alu 0xfffe
	v_add_co_ci_u32_e32 v13, vcc_lo, 0, v13, vcc_lo
	v_cmp_ne_u32_e32 vcc_lo, 0, v0
	v_cmp_eq_u32_e64 s0, 3, v14
	s_delay_alu instid0(VALU_DEP_3)
	v_cndmask_b32_e64 v11, 0x7c00, v13, s1
	v_cmp_eq_u32_e64 s1, 0x40f, v27
	s_wait_alu 0xfffd
	v_cndmask_b32_e64 v0, 0, 1, vcc_lo
	v_cmp_lt_i32_e32 vcc_lo, 5, v14
	v_lshrrev_b32_e32 v13, 2, v23
	v_bfe_u32 v23, v15, 20, 11
	v_lshrrev_b32_e32 v15, 16, v15
	v_lshl_or_b32 v0, v0, 9, 0x7c00
	s_or_b32 vcc_lo, s0, vcc_lo
	s_delay_alu instid0(VALU_DEP_1)
	v_cndmask_b32_e64 v0, v11, v0, s1
	s_wait_alu 0xfffe
	v_add_co_ci_u32_e32 v11, vcc_lo, 0, v13, vcc_lo
	v_cmp_ne_u32_e32 vcc_lo, 0, v22
	v_mul_f64_e32 v[13:14], s[10:11], v[5:6]
	v_sub_nc_u32_e32 v5, 0x3f1, v23
	v_and_or_b32 v0, 0x8000, v1, v0
	v_add_nc_u32_e32 v23, 0xfffffc10, v23
	s_wait_alu 0xfffd
	v_cndmask_b32_e64 v22, 0, 1, vcc_lo
	v_cmp_gt_i32_e32 vcc_lo, 31, v30
	v_med3_i32 v27, v5, 0, 13
	v_and_or_b32 v8, 0x1ff, v9, v8
	s_wait_alu 0xfffd
	v_cndmask_b32_e32 v6, 0x7c00, v11, vcc_lo
	v_lshl_or_b32 v11, v22, 9, 0x7c00
	v_cmp_eq_u32_e32 vcc_lo, 0x40f, v30
	v_mul_f64_e32 v[3:4], s[10:11], v[3:4]
	v_lshlrev_b32_e32 v22, v28, v26
	v_or_b32_e32 v28, 0x1000, v2
	s_wait_alu 0xfffd
	v_cndmask_b32_e32 v5, v6, v11, vcc_lo
	v_lshrrev_b32_e32 v6, 16, v16
	v_and_b32_e32 v16, 0xffff, v0
	v_add_co_u32 v0, vcc_lo, v17, s8
	s_wait_alu 0xfffd
	v_add_co_ci_u32_e32 v1, vcc_lo, s9, v18, vcc_lo
	v_lshrrev_b32_e32 v18, 16, v10
	v_and_or_b32 v11, 0x8000, v6, v5
	v_mul_f64_e32 v[5:6], s[10:11], v[20:21]
	v_cmp_ne_u32_e32 vcc_lo, 0, v8
	v_lshrrev_b32_e32 v20, 8, v9
	v_mul_f16_e32 v21, v32, v18
	v_lshl_or_b32 v11, v11, 16, v16
	v_lshrrev_b32_e32 v30, v27, v28
	s_wait_alu 0xfffd
	v_cndmask_b32_e64 v8, 0, 1, vcc_lo
	v_add_co_u32 v16, vcc_lo, v0, s14
	global_store_b32 v[0:1], v11, off
	s_wait_alu 0xfffd
	v_add_co_ci_u32_e32 v17, vcc_lo, s15, v1, vcc_lo
	v_and_or_b32 v0, 0x1ff, v14, v13
	v_and_or_b32 v8, 0xffe, v20, v8
	v_lshlrev_b32_e32 v25, v27, v30
	v_bfe_u32 v11, v9, 20, 11
	v_lshrrev_b32_e32 v9, 16, v9
	v_cmp_ne_u32_e32 vcc_lo, 0, v0
	v_or_b32_e32 v27, 0x1000, v8
	s_delay_alu instid0(VALU_DEP_4)
	v_sub_nc_u32_e32 v13, 0x3f1, v11
	v_add_nc_u32_e32 v11, 0xfffffc10, v11
	s_wait_alu 0xfffd
	v_cndmask_b32_e64 v20, 0, 1, vcc_lo
	v_cmp_ne_u32_e32 vcc_lo, v22, v24
	v_add_nc_u32_e32 v22, 0xfffffc10, v29
	v_and_or_b32 v3, 0x1ff, v4, v3
	v_med3_i32 v13, v13, 0, 13
	s_delay_alu instid0(VALU_DEP_1)
	v_lshrrev_b32_e32 v29, v13, v27
	v_and_or_b32 v5, 0x1ff, v6, v5
	s_wait_loadcnt 0x0
	v_fmac_f16_e32 v21, v31, v10
	v_mul_f16_e32 v10, v32, v10
	scratch_load_b32 v32, off, off offset:100 th:TH_LOAD_LU ; 4-byte Folded Reload
	v_cvt_f32_f16_e32 v1, v21
	v_lshrrev_b32_e32 v21, 8, v14
	v_fma_f16 v10, v31, v18, -v10
	v_bfe_u32 v31, v4, 20, 11
	s_delay_alu instid0(VALU_DEP_4) | instskip(NEXT) | instid1(VALU_DEP_4)
	v_cvt_f64_f32_e32 v[0:1], v1
	v_and_or_b32 v18, 0xffe, v21, v20
	s_wait_alu 0xfffd
	v_cndmask_b32_e64 v20, 0, 1, vcc_lo
	v_cmp_ne_u32_e32 vcc_lo, 0, v3
	v_lshrrev_b32_e32 v21, 8, v4
	v_lshrrev_b32_e32 v4, 16, v4
	s_delay_alu instid0(VALU_DEP_4)
	v_or_b32_e32 v20, v26, v20
	s_wait_alu 0xfffd
	v_cndmask_b32_e64 v3, 0, 1, vcc_lo
	v_cmp_ne_u32_e32 vcc_lo, v25, v28
	v_lshl_or_b32 v25, v22, 12, v19
	v_lshl_or_b32 v26, v23, 12, v2
	v_lshrrev_b32_e32 v28, 8, v6
	s_wait_alu 0xfffd
	v_cndmask_b32_e64 v24, 0, 1, vcc_lo
	v_cmp_ne_u32_e32 vcc_lo, 0, v5
	s_delay_alu instid0(VALU_DEP_2) | instskip(SKIP_3) | instid1(VALU_DEP_2)
	v_or_b32_e32 v24, v30, v24
	s_wait_alu 0xfffd
	v_cndmask_b32_e64 v5, 0, 1, vcc_lo
	v_cmp_gt_i32_e32 vcc_lo, 1, v22
	v_and_or_b32 v5, 0xffe, v28, v5
	s_wait_alu 0xfffd
	v_cndmask_b32_e32 v25, v25, v20, vcc_lo
	v_cmp_gt_i32_e32 vcc_lo, 1, v23
	v_cvt_f32_f16_e32 v20, v10
	v_and_or_b32 v10, 0xffe, v21, v3
	v_lshlrev_b32_e32 v28, v13, v29
	v_or_b32_e32 v33, 0x1000, v5
	s_wait_alu 0xfffd
	v_cndmask_b32_e32 v24, v26, v24, vcc_lo
	v_and_b32_e32 v26, 7, v25
	v_cvt_f64_f32_e32 v[20:21], v20
	v_lshrrev_b32_e32 v25, 2, v25
	s_delay_alu instid0(VALU_DEP_4) | instskip(NEXT) | instid1(VALU_DEP_4)
	v_and_b32_e32 v3, 7, v24
	v_cmp_lt_i32_e32 vcc_lo, 5, v26
	v_cmp_eq_u32_e64 s0, 3, v26
	v_mul_f64_e32 v[0:1], s[10:11], v[0:1]
	v_lshrrev_b32_e32 v24, 2, v24
	v_cmp_lt_i32_e64 s1, 5, v3
	v_cmp_eq_u32_e64 s2, 3, v3
	s_or_b32 vcc_lo, s0, vcc_lo
	v_bfe_u32 v26, v14, 20, 11
	s_wait_alu 0xfffe
	v_add_co_ci_u32_e32 v3, vcc_lo, 0, v25, vcc_lo
	v_cmp_ne_u32_e32 vcc_lo, 0, v19
	s_delay_alu instid0(VALU_DEP_3) | instskip(SKIP_4) | instid1(VALU_DEP_2)
	v_sub_nc_u32_e32 v25, 0x3f1, v26
	v_add_nc_u32_e32 v26, 0xfffffc10, v26
	s_wait_alu 0xfffd
	v_cndmask_b32_e64 v19, 0, 1, vcc_lo
	v_cmp_gt_i32_e32 vcc_lo, 31, v22
	v_lshl_or_b32 v13, v19, 9, 0x7c00
	s_wait_alu 0xfffd
	v_cndmask_b32_e32 v3, 0x7c00, v3, vcc_lo
	v_cmp_eq_u32_e32 vcc_lo, 0x40f, v22
	v_med3_i32 v19, v25, 0, 13
	v_or_b32_e32 v22, 0x1000, v18
	s_wait_alu 0xfffd
	v_cndmask_b32_e32 v13, v3, v13, vcc_lo
	s_or_b32 vcc_lo, s2, s1
	v_cmp_gt_i32_e64 s1, 1, v26
	s_wait_alu 0xfffe
	v_add_co_ci_u32_e32 v3, vcc_lo, 0, v24, vcc_lo
	v_cmp_ne_u32_e32 vcc_lo, 0, v2
	v_and_or_b32 v7, 0x8000, v7, v13
	v_lshrrev_b32_e32 v24, v19, v22
	s_wait_alu 0xfffd
	v_cndmask_b32_e64 v2, 0, 1, vcc_lo
	v_cmp_gt_i32_e32 vcc_lo, 31, v23
	v_and_b32_e32 v7, 0xffff, v7
	v_and_or_b32 v0, 0x1ff, v1, v0
	s_delay_alu instid0(VALU_DEP_4)
	v_lshl_or_b32 v30, v2, 9, 0x7c00
	s_wait_alu 0xfffd
	v_cndmask_b32_e32 v25, 0x7c00, v3, vcc_lo
	v_mul_f64_e32 v[2:3], s[10:11], v[20:21]
	v_cmp_eq_u32_e32 vcc_lo, 0x40f, v23
	v_lshrrev_b32_e32 v23, 16, v12
	v_sub_nc_u32_e32 v21, 0x3f1, v31
	s_wait_alu 0xfffd
	v_cndmask_b32_e32 v20, v25, v30, vcc_lo
	v_cmp_ne_u32_e32 vcc_lo, 0, v0
	v_bfe_u32 v25, v6, 20, 11
	v_lshlrev_b32_e32 v30, v19, v24
	v_med3_i32 v21, v21, 0, 13
	v_and_or_b32 v15, 0x8000, v15, v20
	s_wait_alu 0xfffd
	v_cndmask_b32_e64 v0, 0, 1, vcc_lo
	v_sub_nc_u32_e32 v19, 0x3f1, v25
	v_or_b32_e32 v20, 0x1000, v10
	v_add_nc_u32_e32 v25, 0xfffffc10, v25
	v_lshl_or_b32 v7, v15, 16, v7
	v_lshrrev_b32_e32 v6, 16, v6
	global_store_b32 v[16:17], v7, off
	v_add_co_u32 v16, vcc_lo, v16, s14
	s_wait_alu 0xfffd
	v_add_co_ci_u32_e32 v17, vcc_lo, s15, v17, vcc_lo
	v_cmp_ne_u32_e32 vcc_lo, v28, v27
	v_lshrrev_b32_e32 v27, v21, v20
	s_delay_alu instid0(VALU_DEP_1) | instskip(SKIP_3) | instid1(VALU_DEP_1)
	v_lshlrev_b32_e32 v21, v21, v27
	v_and_or_b32 v2, 0x1ff, v3, v2
	s_wait_loadcnt 0x0
	v_mul_f16_e32 v13, v32, v23
	v_fmac_f16_e32 v13, v34, v12
	v_mul_f16_e32 v12, v32, v12
	v_med3_i32 v32, v19, 0, 13
	s_delay_alu instid0(VALU_DEP_3) | instskip(NEXT) | instid1(VALU_DEP_3)
	v_cvt_f32_f16_e32 v7, v13
	v_fma_f16 v15, v34, v23, -v12
	s_wait_alu 0xfffd
	v_cndmask_b32_e64 v23, 0, 1, vcc_lo
	v_cmp_gt_i32_e32 vcc_lo, 1, v11
	v_lshrrev_b32_e32 v28, v32, v33
	v_cvt_f64_f32_e32 v[12:13], v7
	v_lshrrev_b32_e32 v7, 8, v1
	v_cvt_f32_f16_e32 v15, v15
	s_delay_alu instid0(VALU_DEP_2) | instskip(SKIP_4) | instid1(VALU_DEP_2)
	v_and_or_b32 v19, 0xffe, v7, v0
	v_or_b32_e32 v0, v29, v23
	v_lshl_or_b32 v7, v11, 12, v8
	v_lshlrev_b32_e32 v23, v32, v28
	s_wait_alu 0xfffd
	v_cndmask_b32_e32 v7, v7, v0, vcc_lo
	v_cmp_ne_u32_e32 vcc_lo, 0, v2
	v_lshrrev_b32_e32 v2, 8, v3
	s_wait_alu 0xfffd
	v_cndmask_b32_e64 v0, 0, 1, vcc_lo
	v_cmp_ne_u32_e32 vcc_lo, v30, v22
	v_and_b32_e32 v22, 7, v7
	v_lshrrev_b32_e32 v7, 2, v7
	s_delay_alu instid0(VALU_DEP_4)
	v_and_or_b32 v0, 0xffe, v2, v0
	s_wait_alu 0xfffd
	v_cndmask_b32_e64 v29, 0, 1, vcc_lo
	v_cmp_lt_i32_e32 vcc_lo, 5, v22
	v_cmp_eq_u32_e64 s0, 3, v22
	v_bfe_u32 v2, v1, 20, 11
	v_or_b32_e32 v35, 0x1000, v0
	v_or_b32_e32 v24, v24, v29
	v_lshl_or_b32 v29, v26, 12, v18
	s_or_b32 vcc_lo, s0, vcc_lo
	v_sub_nc_u32_e32 v22, 0x3f1, v2
	v_add_nc_u32_e32 v2, 0xfffffc10, v2
	v_lshrrev_b32_e32 v1, 16, v1
	v_cndmask_b32_e64 v24, v29, v24, s1
	s_wait_alu 0xfffe
	v_add_co_ci_u32_e32 v29, vcc_lo, 0, v7, vcc_lo
	v_cmp_ne_u32_e32 vcc_lo, 0, v8
	v_mul_f64_e32 v[7:8], s[10:11], v[12:13]
	v_and_b32_e32 v32, 7, v24
	v_lshrrev_b32_e32 v24, 2, v24
	ds_load_2addr_b32 v[12:13], v112 offset0:110 offset1:235
	s_wait_alu 0xfffd
	v_cndmask_b32_e64 v30, 0, 1, vcc_lo
	v_cmp_gt_i32_e32 vcc_lo, 31, v11
	v_cmp_eq_u32_e64 s0, 3, v32
	v_cmp_eq_u32_e64 s1, 0x40f, v11
	v_med3_i32 v22, v22, 0, 13
	v_lshl_or_b32 v30, v30, 9, 0x7c00
	s_wait_alu 0xfffd
	v_cndmask_b32_e32 v29, 0x7c00, v29, vcc_lo
	v_cmp_lt_i32_e32 vcc_lo, 5, v32
	v_or_b32_e32 v32, 0x1000, v19
	s_wait_alu 0xf1ff
	s_delay_alu instid0(VALU_DEP_3)
	v_cndmask_b32_e64 v11, v29, v30, s1
	s_or_b32 vcc_lo, s0, vcc_lo
	v_cmp_gt_i32_e64 s1, 1, v25
	s_wait_alu 0xfffe
	v_add_co_ci_u32_e32 v24, vcc_lo, 0, v24, vcc_lo
	v_cmp_ne_u32_e32 vcc_lo, 0, v18
	v_and_or_b32 v9, 0x8000, v9, v11
	v_lshrrev_b32_e32 v30, v22, v32
	s_wait_dscnt 0x0
	v_lshrrev_b32_e32 v34, 16, v12
	v_bfe_u32 v29, v3, 20, 11
	s_wait_alu 0xfffd
	v_cndmask_b32_e64 v18, 0, 1, vcc_lo
	v_cmp_gt_i32_e32 vcc_lo, 31, v26
	v_and_b32_e32 v9, 0xffff, v9
	v_lshrrev_b32_e32 v3, 16, v3
	s_delay_alu instid0(VALU_DEP_4)
	v_lshl_or_b32 v18, v18, 9, 0x7c00
	s_wait_alu 0xfffd
	v_cndmask_b32_e32 v24, 0x7c00, v24, vcc_lo
	v_cmp_eq_u32_e32 vcc_lo, 0x40f, v26
	v_sub_nc_u32_e32 v26, 0x3f1, v29
	s_wait_alu 0xfffd
	s_delay_alu instid0(VALU_DEP_3)
	v_cndmask_b32_e32 v18, v24, v18, vcc_lo
	v_lshrrev_b32_e32 v24, 16, v14
	v_cmp_ne_u32_e32 vcc_lo, v21, v20
	v_and_or_b32 v7, 0x1ff, v8, v7
	v_cvt_f64_f32_e32 v[14:15], v15
	v_med3_i32 v26, v26, 0, 13
	v_and_or_b32 v11, 0x8000, v24, v18
	v_mul_f16_e32 v18, v38, v34
	s_wait_alu 0xfffd
	v_cndmask_b32_e64 v20, 0, 1, vcc_lo
	v_add_nc_u32_e32 v24, 0xfffffc10, v31
	v_cmp_ne_u32_e32 vcc_lo, 0, v7
	v_lshl_or_b32 v36, v11, 16, v9
	v_fmac_f16_e32 v18, v37, v12
	v_mul_f16_e32 v12, v38, v12
	scratch_load_b32 v38, off, off offset:84 th:TH_LOAD_LU ; 4-byte Folded Reload
	v_or_b32_e32 v20, v27, v20
	v_lshl_or_b32 v21, v24, 12, v10
	s_wait_alu 0xfffd
	v_cndmask_b32_e64 v7, 0, 1, vcc_lo
	v_fma_f16 v12, v37, v34, -v12
	scratch_load_b32 v37, off, off offset:80 th:TH_LOAD_LU ; 4-byte Folded Reload
	v_cvt_f32_f16_e32 v18, v18
	v_cmp_gt_i32_e32 vcc_lo, 1, v24
	v_lshrrev_b32_e32 v31, 8, v8
	global_store_b32 v[16:17], v36, off
	s_wait_alu 0xfffd
	v_cndmask_b32_e32 v27, v21, v20, vcc_lo
	v_cvt_f64_f32_e32 v[20:21], v18
	v_cmp_ne_u32_e32 vcc_lo, v23, v33
	v_lshl_or_b32 v18, v25, 12, v5
	v_and_or_b32 v7, 0xffe, v31, v7
	v_and_b32_e32 v11, 7, v27
	v_lshlrev_b32_e32 v31, v22, v30
	s_wait_alu 0xfffd
	v_cndmask_b32_e64 v9, 0, 1, vcc_lo
	v_lshrrev_b32_e32 v33, v26, v35
	v_cmp_lt_i32_e32 vcc_lo, 5, v11
	v_cmp_eq_u32_e64 s0, 3, v11
	s_delay_alu instid0(VALU_DEP_4) | instskip(SKIP_2) | instid1(VALU_DEP_4)
	v_or_b32_e32 v9, v28, v9
	v_lshrrev_b32_e32 v11, 2, v27
	v_lshlrev_b32_e32 v26, v26, v33
	s_or_b32 vcc_lo, s0, vcc_lo
	s_delay_alu instid0(VALU_DEP_3)
	v_cndmask_b32_e64 v9, v18, v9, s1
	s_wait_alu 0xfffe
	v_add_co_ci_u32_e32 v11, vcc_lo, 0, v11, vcc_lo
	v_cmp_gt_i32_e32 vcc_lo, 31, v24
	v_mul_f64_e32 v[14:15], s[10:11], v[14:15]
	v_and_b32_e32 v22, 7, v9
	v_lshrrev_b32_e32 v9, 2, v9
	v_cmp_ne_u32_e64 s1, 0, v10
	s_wait_alu 0xfffd
	v_cndmask_b32_e32 v27, 0x7c00, v11, vcc_lo
	v_cvt_f32_f16_e32 v11, v12
	v_cmp_lt_i32_e32 vcc_lo, 5, v22
	v_cmp_eq_u32_e64 s0, 3, v22
	s_wait_alu 0xf1ff
	v_cndmask_b32_e64 v12, 0, 1, s1
	v_bfe_u32 v18, v8, 20, 11
	v_cvt_f64_f32_e32 v[22:23], v11
	v_lshrrev_b32_e32 v8, 16, v8
	s_or_b32 vcc_lo, s0, vcc_lo
	s_wait_alu 0xfffe
	v_add_co_ci_u32_e32 v11, vcc_lo, 0, v9, vcc_lo
	v_cmp_ne_u32_e32 vcc_lo, 0, v5
	v_mul_f64_e32 v[9:10], s[10:11], v[20:21]
	v_lshl_or_b32 v20, v12, 9, 0x7c00
	s_wait_alu 0xfffd
	v_cndmask_b32_e64 v5, 0, 1, vcc_lo
	v_cmp_gt_i32_e32 vcc_lo, 31, v25
	s_delay_alu instid0(VALU_DEP_2)
	v_lshl_or_b32 v5, v5, 9, 0x7c00
	s_wait_alu 0xfffd
	v_cndmask_b32_e32 v21, 0x7c00, v11, vcc_lo
	ds_load_2addr_b32 v[11:12], v142 offset0:80 offset1:205
	v_cmp_eq_u32_e32 vcc_lo, 0x40f, v24
	v_sub_nc_u32_e32 v24, 0x3f1, v18
	v_add_nc_u32_e32 v18, 0xfffffc10, v18
	s_wait_alu 0xfffd
	v_cndmask_b32_e32 v20, v27, v20, vcc_lo
	v_cmp_eq_u32_e32 vcc_lo, 0x40f, v25
	v_lshrrev_b32_e32 v28, 8, v15
	s_delay_alu instid0(VALU_DEP_3)
	v_and_or_b32 v4, 0x8000, v4, v20
	s_wait_alu 0xfffd
	v_cndmask_b32_e32 v5, v21, v5, vcc_lo
	v_med3_i32 v20, v24, 0, 13
	v_or_b32_e32 v24, 0x1000, v7
	v_add_co_u32 v16, vcc_lo, v16, s8
	s_delay_alu instid0(VALU_DEP_4)
	v_and_or_b32 v5, 0x8000, v6, v5
	v_and_or_b32 v6, 0x1ff, v15, v14
	s_wait_alu 0xfffd
	v_add_co_ci_u32_e32 v17, vcc_lo, s9, v17, vcc_lo
	s_wait_dscnt 0x0
	v_lshrrev_b32_e32 v25, 16, v11
	v_and_b32_e32 v4, 0xffff, v4
	v_lshrrev_b32_e32 v27, v20, v24
	v_cmp_ne_u32_e32 vcc_lo, 0, v6
	v_bfe_u32 v34, v15, 20, 11
	v_lshrrev_b32_e32 v15, 16, v15
	v_lshl_or_b32 v4, v5, 16, v4
	v_and_or_b32 v9, 0x1ff, v10, v9
	s_wait_alu 0xfffd
	v_cndmask_b32_e64 v14, 0, 1, vcc_lo
	v_mul_f64_e32 v[5:6], s[10:11], v[22:23]
	v_lshlrev_b32_e32 v36, v20, v27
	v_add_co_u32 v20, vcc_lo, v16, s14
	global_store_b32 v[16:17], v4, off
	v_and_or_b32 v14, 0xffe, v28, v14
	v_sub_nc_u32_e32 v4, 0x3f1, v34
	s_delay_alu instid0(VALU_DEP_2) | instskip(NEXT) | instid1(VALU_DEP_2)
	v_or_b32_e32 v28, 0x1000, v14
	v_med3_i32 v4, v4, 0, 13
	v_and_or_b32 v5, 0x1ff, v6, v5
	s_wait_loadcnt 0x1
	v_mul_f16_e32 v21, v38, v25
	v_mul_f16_e32 v23, v38, v11
	s_wait_loadcnt 0x0
	s_delay_alu instid0(VALU_DEP_2) | instskip(NEXT) | instid1(VALU_DEP_2)
	v_fmac_f16_e32 v21, v37, v11
	v_fma_f16 v23, v37, v25, -v23
	v_lshrrev_b32_e32 v25, v4, v28
	v_bfe_u32 v11, v10, 20, 11
	s_delay_alu instid0(VALU_DEP_4)
	v_cvt_f32_f16_e32 v22, v21
	s_wait_alu 0xfffd
	v_add_co_ci_u32_e32 v21, vcc_lo, s15, v17, vcc_lo
	v_cmp_ne_u32_e32 vcc_lo, 0, v9
	v_lshlrev_b32_e32 v37, v4, v25
	v_cvt_f64_f32_e32 v[16:17], v22
	v_lshrrev_b32_e32 v22, 8, v10
	v_cvt_f32_f16_e32 v23, v23
	s_wait_alu 0xfffd
	v_cndmask_b32_e64 v9, 0, 1, vcc_lo
	v_cmp_ne_u32_e32 vcc_lo, v31, v32
	v_sub_nc_u32_e32 v32, 0x3f1, v11
	v_add_nc_u32_e32 v11, 0xfffffc10, v11
	v_lshrrev_b32_e32 v10, 16, v10
	v_and_or_b32 v9, 0xffe, v22, v9
	s_wait_alu 0xfffd
	v_cndmask_b32_e64 v31, 0, 1, vcc_lo
	v_cmp_gt_i32_e32 vcc_lo, 1, v2
	v_med3_i32 v32, v32, 0, 13
	s_delay_alu instid0(VALU_DEP_3) | instskip(SKIP_2) | instid1(VALU_DEP_1)
	v_or_b32_e32 v30, v30, v31
	v_lshl_or_b32 v31, v2, 12, v19
	s_wait_alu 0xfffd
	v_cndmask_b32_e32 v4, v31, v30, vcc_lo
	v_cmp_ne_u32_e32 vcc_lo, v26, v35
	v_add_nc_u32_e32 v26, 0xfffffc10, v29
	v_lshrrev_b32_e32 v35, 8, v6
	v_or_b32_e32 v30, 0x1000, v9
	v_and_b32_e32 v29, 7, v4
	s_wait_alu 0xfffd
	v_cndmask_b32_e64 v22, 0, 1, vcc_lo
	v_cmp_gt_i32_e64 s1, 1, v26
	v_lshrrev_b32_e32 v4, 2, v4
	v_cmp_lt_i32_e32 vcc_lo, 5, v29
	s_delay_alu instid0(VALU_DEP_4) | instskip(SKIP_4) | instid1(VALU_DEP_3)
	v_or_b32_e32 v31, v33, v22
	v_lshl_or_b32 v33, v26, 12, v0
	v_cvt_f64_f32_e32 v[22:23], v23
	v_cmp_eq_u32_e64 s0, 3, v29
	s_wait_alu 0xf1ff
	v_cndmask_b32_e64 v29, v33, v31, s1
	v_cmp_ne_u32_e64 s1, 0, v5
	s_delay_alu instid0(VALU_DEP_3)
	s_or_b32 vcc_lo, s0, vcc_lo
	v_mul_f64_e32 v[16:17], s[10:11], v[16:17]
	s_wait_alu 0xfffe
	v_add_co_ci_u32_e32 v33, vcc_lo, 0, v4, vcc_lo
	v_and_b32_e32 v5, 7, v29
	v_cmp_ne_u32_e32 vcc_lo, 0, v19
	v_lshrrev_b32_e32 v29, 2, v29
	v_cndmask_b32_e64 v31, 0, 1, s1
	v_cmp_gt_i32_e64 s1, 31, v2
	v_cmp_eq_u32_e64 s0, 3, v5
	s_wait_alu 0xfffd
	v_cndmask_b32_e64 v19, 0, 1, vcc_lo
	v_cmp_lt_i32_e32 vcc_lo, 5, v5
	ds_load_2addr_b32 v[4:5], v244 offset0:50 offset1:175
	s_wait_alu 0xf1ff
	v_cndmask_b32_e64 v33, 0x7c00, v33, s1
	v_lshl_or_b32 v19, v19, 9, 0x7c00
	s_or_b32 vcc_lo, s0, vcc_lo
	v_cmp_gt_i32_e64 s0, 31, v26
	s_wait_alu 0xfffe
	v_add_co_ci_u32_e32 v29, vcc_lo, 0, v29, vcc_lo
	v_cmp_ne_u32_e32 vcc_lo, 0, v0
	s_wait_alu 0xfffd
	v_cndmask_b32_e64 v0, 0, 1, vcc_lo
	v_cmp_eq_u32_e32 vcc_lo, 0x40f, v2
	s_wait_alu 0xf1ff
	v_cndmask_b32_e64 v2, 0x7c00, v29, s0
	v_bfe_u32 v29, v6, 20, 11
	v_lshrrev_b32_e32 v6, 16, v6
	v_lshl_or_b32 v0, v0, 9, 0x7c00
	s_wait_alu 0xfffd
	v_cndmask_b32_e32 v19, v33, v19, vcc_lo
	v_cmp_eq_u32_e32 vcc_lo, 0x40f, v26
	s_wait_dscnt 0x0
	v_lshrrev_b32_e32 v26, 16, v4
	v_sub_nc_u32_e32 v33, 0x3f1, v29
	v_add_nc_u32_e32 v29, 0xfffffc10, v29
	v_and_or_b32 v19, 0x8000, v1, v19
	s_wait_alu 0xfffd
	v_cndmask_b32_e32 v0, v2, v0, vcc_lo
	v_mul_f64_e32 v[1:2], s[10:11], v[22:23]
	v_and_or_b32 v23, 0xffe, v35, v31
	v_lshrrev_b32_e32 v31, v32, v30
	v_med3_i32 v33, v33, 0, 13
	v_and_or_b32 v0, 0x8000, v3, v0
	v_and_b32_e32 v3, 0xffff, v19
	v_mul_f16_e32 v19, v41, v26
	v_or_b32_e32 v35, 0x1000, v23
	v_lshlrev_b32_e32 v32, v32, v31
	s_delay_alu instid0(VALU_DEP_4) | instskip(NEXT) | instid1(VALU_DEP_4)
	v_lshl_or_b32 v0, v0, 16, v3
	v_fmac_f16_e32 v19, v40, v4
	v_and_or_b32 v3, 0x1ff, v17, v16
	v_bfe_u32 v16, v17, 20, 11
	v_mul_f16_e32 v4, v41, v4
	global_store_b32 v[20:21], v0, off
	v_cvt_f32_f16_e32 v0, v19
	v_add_co_u32 v19, vcc_lo, v20, s14
	s_wait_alu 0xfffd
	v_add_co_ci_u32_e32 v20, vcc_lo, s15, v21, vcc_lo
	v_cmp_ne_u32_e32 vcc_lo, 0, v3
	v_cvt_f64_f32_e32 v[21:22], v0
	v_lshrrev_b32_e32 v3, 8, v17
	v_fma_f16 v4, v40, v26, -v4
	v_lshrrev_b32_e32 v39, v33, v35
	s_wait_alu 0xfffd
	v_cndmask_b32_e64 v0, 0, 1, vcc_lo
	v_cmp_ne_u32_e32 vcc_lo, v36, v24
	v_sub_nc_u32_e32 v24, 0x3f1, v16
	v_cvt_f32_f16_e32 v4, v4
	v_lshlrev_b32_e32 v33, v33, v39
	v_and_or_b32 v38, 0xffe, v3, v0
	s_wait_alu 0xfffd
	v_cndmask_b32_e64 v36, 0, 1, vcc_lo
	v_cmp_ne_u32_e32 vcc_lo, v37, v28
	v_med3_i32 v0, v24, 0, 13
	v_lshl_or_b32 v24, v18, 12, v7
	v_add_nc_u32_e32 v16, 0xfffffc10, v16
	v_or_b32_e32 v3, v27, v36
	s_wait_alu 0xfffd
	v_cndmask_b32_e64 v28, 0, 1, vcc_lo
	v_cmp_gt_i32_e32 vcc_lo, 1, v18
	v_and_or_b32 v1, 0x1ff, v2, v1
	v_or_b32_e32 v27, 0x1000, v38
	s_delay_alu instid0(VALU_DEP_4)
	v_or_b32_e32 v25, v25, v28
	s_wait_alu 0xfffd
	v_dual_cndmask_b32 v3, v24, v3 :: v_dual_add_nc_u32 v24, 0xfffffc10, v34
	v_cmp_ne_u32_e32 vcc_lo, 0, v1
	v_lshrrev_b32_e32 v28, v0, v27
	v_lshrrev_b32_e32 v34, 8, v2
	s_delay_alu instid0(VALU_DEP_4) | instskip(SKIP_4) | instid1(VALU_DEP_3)
	v_lshl_or_b32 v26, v24, 12, v14
	s_wait_alu 0xfffd
	v_cndmask_b32_e64 v1, 0, 1, vcc_lo
	v_cmp_gt_i32_e32 vcc_lo, 1, v24
	v_lshlrev_b32_e32 v36, v0, v28
	v_and_or_b32 v34, 0xffe, v34, v1
	s_wait_alu 0xfffd
	v_dual_cndmask_b32 v25, v26, v25 :: v_dual_and_b32 v26, 7, v3
	v_lshrrev_b32_e32 v3, 2, v3
	v_mul_f64_e32 v[0:1], s[10:11], v[21:22]
	v_bfe_u32 v21, v2, 20, 11
	s_delay_alu instid0(VALU_DEP_4) | instskip(SKIP_2) | instid1(VALU_DEP_4)
	v_and_b32_e32 v37, 7, v25
	v_cmp_lt_i32_e32 vcc_lo, 5, v26
	v_cmp_eq_u32_e64 s0, 3, v26
	v_sub_nc_u32_e32 v22, 0x3f1, v21
	s_delay_alu instid0(VALU_DEP_4) | instskip(SKIP_1) | instid1(VALU_DEP_4)
	v_cmp_lt_i32_e64 s1, 5, v37
	v_cmp_eq_u32_e64 s2, 3, v37
	s_or_b32 vcc_lo, s0, vcc_lo
	v_cmp_gt_i32_e64 s0, 31, v24
	s_wait_alu 0xfffe
	v_add_co_ci_u32_e32 v3, vcc_lo, 0, v3, vcc_lo
	v_cmp_ne_u32_e32 vcc_lo, 0, v7
	s_wait_alu 0xfffd
	v_cndmask_b32_e64 v7, 0, 1, vcc_lo
	v_cmp_gt_i32_e32 vcc_lo, 31, v18
	s_delay_alu instid0(VALU_DEP_2)
	v_lshl_or_b32 v7, v7, 9, 0x7c00
	s_wait_alu 0xfffd
	v_cndmask_b32_e32 v26, 0x7c00, v3, vcc_lo
	v_lshrrev_b32_e32 v3, 2, v25
	s_or_b32 vcc_lo, s2, s1
	v_cmp_gt_i32_e64 s1, 31, v11
	s_wait_alu 0xfffe
	s_delay_alu instid0(VALU_DEP_2)
	v_add_co_ci_u32_e32 v25, vcc_lo, 0, v3, vcc_lo
	v_cmp_ne_u32_e32 vcc_lo, 0, v14
	v_cvt_f64_f32_e32 v[3:4], v4
	s_wait_alu 0xfffd
	v_cndmask_b32_e64 v14, 0, 1, vcc_lo
	v_cmp_eq_u32_e32 vcc_lo, 0x40f, v18
	v_cndmask_b32_e64 v18, 0x7c00, v25, s0
	v_and_or_b32 v0, 0x1ff, v1, v0
	v_lshrrev_b32_e32 v25, 16, v13
	v_lshl_or_b32 v14, v14, 9, 0x7c00
	s_wait_alu 0xfffd
	v_cndmask_b32_e32 v7, v26, v7, vcc_lo
	v_cmp_eq_u32_e32 vcc_lo, 0x40f, v24
	s_clause 0x1
	scratch_load_b32 v24, off, off offset:68 th:TH_LOAD_LU
	scratch_load_b32 v26, off, off offset:64 th:TH_LOAD_LU
	v_and_or_b32 v7, 0x8000, v8, v7
	s_wait_alu 0xfffd
	v_cndmask_b32_e32 v14, v18, v14, vcc_lo
	v_cmp_ne_u32_e32 vcc_lo, 0, v0
	v_med3_i32 v18, v22, 0, 13
	v_or_b32_e32 v22, 0x1000, v34
	v_and_b32_e32 v7, 0xffff, v7
	v_and_or_b32 v14, 0x8000, v15, v14
	s_wait_alu 0xfffd
	v_cndmask_b32_e64 v0, 0, 1, vcc_lo
	v_cmp_ne_u32_e32 vcc_lo, v32, v30
	v_lshrrev_b32_e32 v15, v18, v22
	s_delay_alu instid0(VALU_DEP_1) | instskip(SKIP_3) | instid1(VALU_DEP_1)
	v_lshlrev_b32_e32 v18, v18, v15
	s_wait_loadcnt 0x1
	v_mul_f16_e32 v8, v24, v25
	s_wait_loadcnt 0x0
	v_fmac_f16_e32 v8, v26, v13
	v_mul_f16_e32 v13, v24, v13
	v_lshl_or_b32 v24, v14, 16, v7
	s_wait_alu 0xfffd
	v_cndmask_b32_e64 v14, 0, 1, vcc_lo
	v_cmp_ne_u32_e32 vcc_lo, v33, v35
	v_lshrrev_b32_e32 v7, 8, v1
	v_cvt_f32_f16_e32 v8, v8
	v_fma_f16 v25, v26, v25, -v13
	v_or_b32_e32 v13, v31, v14
	v_lshl_or_b32 v14, v11, 12, v9
	s_wait_alu 0xfffd
	v_cndmask_b32_e64 v26, 0, 1, vcc_lo
	v_cmp_gt_i32_e32 vcc_lo, 1, v11
	v_and_or_b32 v0, 0xffe, v7, v0
	v_cvt_f64_f32_e32 v[7:8], v8
	v_cvt_f32_f16_e32 v25, v25
	global_store_b32 v[19:20], v24, off
	s_wait_alu 0xfffd
	v_cndmask_b32_e32 v30, v14, v13, vcc_lo
	v_mul_f64_e32 v[13:14], s[10:11], v[3:4]
	v_or_b32_e32 v3, v39, v26
	v_lshl_or_b32 v4, v29, 12, v23
	v_cmp_gt_i32_e32 vcc_lo, 1, v29
	v_and_b32_e32 v26, 7, v30
	scratch_load_b32 v39, off, off offset:56 th:TH_LOAD_LU ; 4-byte Folded Reload
	v_bfe_u32 v31, v1, 20, 11
	v_lshrrev_b32_e32 v1, 16, v1
	s_wait_alu 0xfffd
	v_cndmask_b32_e32 v33, v4, v3, vcc_lo
	v_cmp_lt_i32_e32 vcc_lo, 5, v26
	v_cmp_eq_u32_e64 s0, 3, v26
	v_lshrrev_b32_e32 v26, 2, v30
	v_cvt_f64_f32_e32 v[3:4], v25
	v_and_b32_e32 v30, 7, v33
	v_sub_nc_u32_e32 v32, 0x3f1, v31
	s_or_b32 vcc_lo, s0, vcc_lo
	s_wait_alu 0xfffe
	v_add_co_ci_u32_e32 v26, vcc_lo, 0, v26, vcc_lo
	v_cmp_lt_i32_e32 vcc_lo, 5, v30
	v_cmp_eq_u32_e64 s0, 3, v30
	v_lshrrev_b32_e32 v30, 2, v33
	s_delay_alu instid0(VALU_DEP_4)
	v_cndmask_b32_e64 v26, 0x7c00, v26, s1
	v_cmp_ne_u32_e64 s1, 0, v9
	v_med3_i32 v25, v32, 0, 13
	s_or_b32 vcc_lo, s0, vcc_lo
	v_cmp_ne_u32_e64 s0, v18, v22
	s_wait_alu 0xfffe
	v_add_co_ci_u32_e32 v30, vcc_lo, 0, v30, vcc_lo
	v_cmp_ne_u32_e32 vcc_lo, 0, v23
	v_cndmask_b32_e64 v9, 0, 1, s1
	v_add_nc_u32_e32 v18, 0xfffffc10, v21
	v_or_b32_e32 v32, 0x1000, v0
	s_wait_alu 0xfffd
	v_cndmask_b32_e64 v23, 0, 1, vcc_lo
	v_cmp_gt_i32_e32 vcc_lo, 31, v29
	v_lshl_or_b32 v33, v9, 9, 0x7c00
	v_mul_f64_e32 v[8:9], s[10:11], v[7:8]
	v_and_or_b32 v13, 0x1ff, v14, v13
	v_lshl_or_b32 v23, v23, 9, 0x7c00
	s_wait_alu 0xfffd
	v_cndmask_b32_e32 v7, 0x7c00, v30, vcc_lo
	scratch_load_b32 v30, off, off offset:60 th:TH_LOAD_LU ; 4-byte Folded Reload
	v_cmp_eq_u32_e32 vcc_lo, 0x40f, v11
	s_wait_alu 0xfffd
	v_cndmask_b32_e32 v11, v26, v33, vcc_lo
	v_cmp_eq_u32_e32 vcc_lo, 0x40f, v29
	v_lshrrev_b32_e32 v29, v25, v32
	v_mul_f64_e32 v[3:4], s[10:11], v[3:4]
	s_delay_alu instid0(VALU_DEP_4)
	v_and_or_b32 v10, 0x8000, v10, v11
	s_wait_alu 0xfffd
	v_cndmask_b32_e32 v7, v7, v23, vcc_lo
	v_cmp_ne_u32_e32 vcc_lo, 0, v13
	v_lshrrev_b32_e32 v13, 8, v14
	v_bfe_u32 v23, v14, 20, 11
	v_and_b32_e32 v10, 0xffff, v10
	v_and_or_b32 v26, 0x8000, v6, v7
	s_wait_alu 0xfffd
	v_cndmask_b32_e64 v11, 0, 1, vcc_lo
	v_add_co_u32 v6, vcc_lo, v19, s8
	s_wait_alu 0xfffd
	v_add_co_ci_u32_e32 v7, vcc_lo, s9, v20, vcc_lo
	v_lshl_or_b32 v10, v26, 16, v10
	v_lshlrev_b32_e32 v19, v25, v29
	v_and_or_b32 v13, 0xffe, v13, v11
	v_sub_nc_u32_e32 v11, 0x3f1, v23
	v_lshrrev_b32_e32 v20, 16, v12
	global_store_b32 v[6:7], v10, off
	v_add_co_u32 v6, vcc_lo, v6, s14
	s_wait_alu 0xfffd
	v_add_co_ci_u32_e32 v7, vcc_lo, s15, v7, vcc_lo
	v_cmp_ne_u32_e64 s1, v19, v32
	v_and_or_b32 v8, 0x1ff, v9, v8
	v_med3_i32 v11, v11, 0, 13
	v_or_b32_e32 v26, 0x1000, v13
	v_add_nc_u32_e32 v19, 0xfffffc10, v31
	v_bfe_u32 v25, v9, 20, 11
	v_cmp_ne_u32_e32 vcc_lo, 0, v8
	v_lshrrev_b32_e32 v33, 8, v9
	v_lshrrev_b32_e32 v10, v11, v26
	;; [unrolled: 1-line block ×3, first 2 shown]
	v_sub_nc_u32_e32 v35, 0x3f1, v25
	s_wait_alu 0xfffd
	v_cndmask_b32_e64 v8, 0, 1, vcc_lo
	v_cmp_ne_u32_e32 vcc_lo, v36, v27
	v_lshlrev_b32_e32 v11, v11, v10
	v_and_or_b32 v3, 0x1ff, v4, v3
	s_delay_alu instid0(VALU_DEP_4) | instskip(SKIP_3) | instid1(VALU_DEP_3)
	v_and_or_b32 v8, 0xffe, v33, v8
	s_wait_alu 0xfffd
	v_cndmask_b32_e64 v27, 0, 1, vcc_lo
	v_cmp_gt_i32_e32 vcc_lo, 1, v16
	v_or_b32_e32 v33, 0x1000, v8
	s_delay_alu instid0(VALU_DEP_3) | instskip(SKIP_2) | instid1(VALU_DEP_1)
	v_or_b32_e32 v27, v28, v27
	v_lshl_or_b32 v28, v16, 12, v38
	s_wait_alu 0xfffd
	v_cndmask_b32_e32 v27, v28, v27, vcc_lo
	v_cmp_ne_u32_e32 vcc_lo, 0, v3
	v_lshrrev_b32_e32 v28, 8, v4
	s_delay_alu instid0(VALU_DEP_3) | instskip(SKIP_3) | instid1(VALU_DEP_3)
	v_and_b32_e32 v37, 7, v27
	s_wait_alu 0xfffd
	v_cndmask_b32_e64 v3, 0, 1, vcc_lo
	v_lshrrev_b32_e32 v22, 2, v27
	v_cmp_lt_i32_e32 vcc_lo, 5, v37
	s_delay_alu instid0(VALU_DEP_3) | instskip(SKIP_3) | instid1(VALU_DEP_3)
	v_and_or_b32 v28, 0xffe, v28, v3
	s_wait_alu 0xf1ff
	v_cndmask_b32_e64 v3, 0, 1, s0
	v_cmp_eq_u32_e64 s0, 3, v37
	v_or_b32_e32 v21, 0x1000, v28
	s_delay_alu instid0(VALU_DEP_3) | instskip(NEXT) | instid1(VALU_DEP_3)
	v_or_b32_e32 v3, v15, v3
	s_or_b32 vcc_lo, s0, vcc_lo
	v_lshl_or_b32 v15, v18, 12, v34
	s_wait_alu 0xfffe
	v_add_co_ci_u32_e32 v22, vcc_lo, 0, v22, vcc_lo
	v_cmp_ne_u32_e32 vcc_lo, 0, v38
	s_wait_alu 0xfffd
	v_cndmask_b32_e64 v27, 0, 1, vcc_lo
	v_cmp_gt_i32_e32 vcc_lo, 1, v18
	s_wait_alu 0xfffd
	v_cndmask_b32_e32 v3, v15, v3, vcc_lo
	v_cmp_gt_i32_e32 vcc_lo, 31, v16
	s_wait_alu 0xfffd
	v_cndmask_b32_e32 v15, 0x7c00, v22, vcc_lo
	v_lshl_or_b32 v22, v27, 9, 0x7c00
	v_and_b32_e32 v27, 7, v3
	v_cmp_eq_u32_e32 vcc_lo, 0x40f, v16
	v_lshrrev_b32_e32 v3, 2, v3
	v_lshrrev_b32_e32 v16, 16, v17
	v_cndmask_b32_e64 v17, 0, 1, s1
	v_cmp_eq_u32_e64 s0, 3, v27
	s_wait_alu 0xfffd
	v_cndmask_b32_e32 v15, v15, v22, vcc_lo
	v_cmp_lt_i32_e32 vcc_lo, 5, v27
	v_lshl_or_b32 v27, v19, 12, v0
	v_or_b32_e32 v17, v29, v17
	s_delay_alu instid0(VALU_DEP_4)
	v_and_or_b32 v15, 0x8000, v16, v15
	s_or_b32 vcc_lo, s0, vcc_lo
	v_cmp_ne_u32_e64 s0, v11, v26
	s_wait_alu 0xfffe
	v_add_co_ci_u32_e32 v3, vcc_lo, 0, v3, vcc_lo
	v_cmp_ne_u32_e32 vcc_lo, 0, v34
	v_and_b32_e32 v15, 0xffff, v15
	s_wait_alu 0xf1ff
	v_cndmask_b32_e64 v11, 0, 1, s0
	s_wait_alu 0xfffd
	v_cndmask_b32_e64 v22, 0, 1, vcc_lo
	v_cmp_gt_i32_e32 vcc_lo, 31, v18
	s_delay_alu instid0(VALU_DEP_3) | instskip(NEXT) | instid1(VALU_DEP_3)
	v_or_b32_e32 v10, v10, v11
	v_lshl_or_b32 v22, v22, 9, 0x7c00
	s_wait_alu 0xfffd
	v_cndmask_b32_e32 v3, 0x7c00, v3, vcc_lo
	v_cmp_gt_i32_e32 vcc_lo, 1, v19
	s_wait_alu 0xfffd
	v_cndmask_b32_e32 v17, v27, v17, vcc_lo
	v_cmp_eq_u32_e32 vcc_lo, 0x40f, v18
	s_wait_alu 0xfffd
	s_delay_alu instid0(VALU_DEP_2) | instskip(SKIP_2) | instid1(VALU_DEP_3)
	v_dual_cndmask_b32 v18, v3, v22 :: v_dual_and_b32 v27, 7, v17
	v_lshrrev_b32_e32 v17, 2, v17
	v_lshrrev_b32_e32 v22, 16, v2
	v_cmp_lt_i32_e32 vcc_lo, 5, v27
	v_cmp_eq_u32_e64 s0, 3, v27
	s_delay_alu instid0(VALU_DEP_3)
	v_and_or_b32 v16, 0x8000, v22, v18
	v_add_nc_u32_e32 v18, 0xfffffc10, v23
	scratch_load_b32 v23, off, off offset:52 th:TH_LOAD_LU ; 4-byte Folded Reload
	s_or_b32 vcc_lo, s0, vcc_lo
	s_wait_alu 0xfffe
	v_add_co_ci_u32_e32 v17, vcc_lo, 0, v17, vcc_lo
	v_cmp_ne_u32_e32 vcc_lo, 0, v0
	v_lshl_or_b32 v11, v18, 12, v13
	v_lshl_or_b32 v15, v16, 16, v15
	s_wait_alu 0xfffd
	v_cndmask_b32_e64 v0, 0, 1, vcc_lo
	v_cmp_gt_i32_e32 vcc_lo, 1, v18
	global_store_b32 v[6:7], v15, off
	v_lshl_or_b32 v0, v0, 9, 0x7c00
	s_wait_alu 0xfffd
	v_cndmask_b32_e32 v22, v11, v10, vcc_lo
	v_cmp_gt_i32_e32 vcc_lo, 31, v19
	s_delay_alu instid0(VALU_DEP_2) | instskip(SKIP_4) | instid1(VALU_DEP_2)
	v_lshrrev_b32_e32 v16, 2, v22
	s_wait_alu 0xfffd
	v_cndmask_b32_e32 v17, 0x7c00, v17, vcc_lo
	v_cmp_eq_u32_e32 vcc_lo, 0x40f, v19
	s_wait_alu 0xfffd
	v_dual_cndmask_b32 v0, v17, v0 :: v_dual_add_nc_u32 v17, 0xfffffc10, v25
	s_delay_alu instid0(VALU_DEP_1) | instskip(NEXT) | instid1(VALU_DEP_2)
	v_and_or_b32 v0, 0x8000, v1, v0
	v_lshl_or_b32 v19, v17, 12, v8
	s_delay_alu instid0(VALU_DEP_2) | instskip(SKIP_3) | instid1(VALU_DEP_2)
	v_and_b32_e32 v0, 0xffff, v0
	s_wait_loadcnt 0x1
	v_mul_f16_e32 v24, v30, v20
	v_mul_f16_e32 v30, v30, v12
	v_fmac_f16_e32 v24, v39, v12
	s_delay_alu instid0(VALU_DEP_2) | instskip(SKIP_2) | instid1(VALU_DEP_4)
	v_fma_f16 v20, v39, v20, -v30
	v_med3_i32 v12, v35, 0, 13
	v_bfe_u32 v35, v4, 20, 11
	v_cvt_f32_f16_e32 v24, v24
	s_delay_alu instid0(VALU_DEP_4)
	v_cvt_f32_f16_e32 v10, v20
	v_and_b32_e32 v20, 7, v22
	scratch_load_b32 v22, off, off offset:48 th:TH_LOAD_LU ; 4-byte Folded Reload
	v_lshrrev_b32_e32 v30, v12, v33
	v_cvt_f64_f32_e32 v[2:3], v24
	v_cvt_f64_f32_e32 v[10:11], v10
	v_cmp_lt_i32_e32 vcc_lo, 5, v20
	v_cmp_eq_u32_e64 s0, 3, v20
	v_lshlrev_b32_e32 v12, v12, v30
	v_sub_nc_u32_e32 v36, 0x3f1, v35
	s_delay_alu instid0(VALU_DEP_3) | instskip(NEXT) | instid1(VALU_DEP_2)
	s_or_b32 vcc_lo, s0, vcc_lo
	v_cmp_ne_u32_e64 s1, v12, v33
	s_wait_alu 0xfffe
	v_add_co_ci_u32_e32 v16, vcc_lo, 0, v16, vcc_lo
	v_cmp_ne_u32_e32 vcc_lo, 0, v13
	v_med3_i32 v36, v36, 0, 13
	s_wait_alu 0xf1ff
	v_cndmask_b32_e64 v12, 0, 1, s1
	s_wait_alu 0xfffd
	v_cndmask_b32_e64 v13, 0, 1, vcc_lo
	v_cmp_gt_i32_e32 vcc_lo, 31, v18
	v_lshrrev_b32_e32 v37, v36, v21
	v_or_b32_e32 v12, v30, v12
	s_delay_alu instid0(VALU_DEP_4)
	v_lshl_or_b32 v13, v13, 9, 0x7c00
	s_wait_alu 0xfffd
	v_cndmask_b32_e32 v16, 0x7c00, v16, vcc_lo
	v_cmp_gt_i32_e32 vcc_lo, 1, v17
	v_lshlrev_b32_e32 v24, v36, v37
	s_wait_alu 0xfffd
	v_cndmask_b32_e32 v12, v19, v12, vcc_lo
	v_cmp_eq_u32_e32 vcc_lo, 0x40f, v18
	s_delay_alu instid0(VALU_DEP_2)
	v_and_b32_e32 v15, 7, v12
	s_wait_alu 0xfffd
	v_cndmask_b32_e32 v13, v16, v13, vcc_lo
	v_cmp_ne_u32_e32 vcc_lo, v24, v21
	v_lshrrev_b32_e32 v12, 2, v12
	v_mul_f64_e32 v[2:3], s[10:11], v[2:3]
	v_cmp_eq_u32_e64 s0, 3, v15
	v_and_or_b32 v13, 0x8000, v14, v13
	s_wait_alu 0xfffd
	v_cndmask_b32_e64 v1, 0, 1, vcc_lo
	v_cmp_lt_i32_e32 vcc_lo, 5, v15
	v_add_nc_u32_e32 v14, 0xfffffc10, v35
	v_mul_f64_e32 v[10:11], s[10:11], v[10:11]
	v_lshrrev_b32_e32 v16, 16, v5
	v_or_b32_e32 v1, v37, v1
	s_or_b32 vcc_lo, s0, vcc_lo
	v_lshl_or_b32 v15, v14, 12, v28
	s_wait_alu 0xfffe
	v_add_co_ci_u32_e32 v12, vcc_lo, 0, v12, vcc_lo
	v_cmp_gt_i32_e32 vcc_lo, 1, v14
	v_lshl_or_b32 v18, v13, 16, v0
	v_lshrrev_b32_e32 v21, 16, v9
	s_wait_alu 0xfffd
	v_cndmask_b32_e32 v15, v15, v1, vcc_lo
	v_cmp_ne_u32_e32 vcc_lo, 0, v8
	s_wait_alu 0xfffd
	v_cndmask_b32_e64 v8, 0, 1, vcc_lo
	v_cmp_gt_i32_e32 vcc_lo, 31, v17
	s_delay_alu instid0(VALU_DEP_2)
	v_lshl_or_b32 v8, v8, 9, 0x7c00
	v_and_or_b32 v0, 0x1ff, v3, v2
	s_wait_alu 0xfffd
	v_cndmask_b32_e32 v2, 0x7c00, v12, vcc_lo
	v_lshrrev_b32_e32 v13, 8, v3
	v_bfe_u32 v19, v3, 20, 11
	v_lshrrev_b32_e32 v3, 16, v3
	v_cmp_ne_u32_e32 vcc_lo, 0, v0
	v_and_or_b32 v9, 0x1ff, v11, v10
	s_wait_alu 0xfffd
	v_cndmask_b32_e64 v12, 0, 1, vcc_lo
	v_cmp_eq_u32_e32 vcc_lo, 0x40f, v17
	s_delay_alu instid0(VALU_DEP_2)
	v_and_or_b32 v20, 0xffe, v13, v12
	s_wait_alu 0xfffd
	v_dual_cndmask_b32 v17, v2, v8 :: v_dual_and_b32 v8, 7, v15
	v_sub_nc_u32_e32 v2, 0x3f1, v19
	v_add_nc_u32_e32 v19, 0xfffffc10, v19
	v_or_b32_e32 v12, 0x1000, v20
	s_delay_alu instid0(VALU_DEP_4)
	v_and_or_b32 v17, 0x8000, v21, v17
	v_cmp_lt_i32_e32 vcc_lo, 5, v8
	v_cmp_eq_u32_e64 s0, 3, v8
	v_lshrrev_b32_e32 v8, 2, v15
	v_med3_i32 v2, v2, 0, 13
	v_lshl_or_b32 v25, v19, 12, v20
	v_lshrrev_b32_e32 v15, 8, v11
	s_or_b32 vcc_lo, s0, vcc_lo
	s_wait_alu 0xfffe
	v_add_co_ci_u32_e32 v8, vcc_lo, 0, v8, vcc_lo
	v_cmp_ne_u32_e32 vcc_lo, 0, v28
	v_lshrrev_b32_e32 v13, v2, v12
	s_wait_alu 0xfffd
	v_cndmask_b32_e64 v10, 0, 1, vcc_lo
	v_cmp_ne_u32_e32 vcc_lo, 0, v9
	s_delay_alu instid0(VALU_DEP_3) | instskip(NEXT) | instid1(VALU_DEP_3)
	v_lshlrev_b32_e32 v2, v2, v13
	v_lshl_or_b32 v10, v10, 9, 0x7c00
	s_wait_alu 0xfffd
	v_cndmask_b32_e64 v9, 0, 1, vcc_lo
	v_cmp_gt_i32_e32 vcc_lo, 31, v14
	s_delay_alu instid0(VALU_DEP_2) | instskip(SKIP_3) | instid1(VALU_DEP_1)
	v_and_or_b32 v15, 0xffe, v15, v9
	s_wait_loadcnt 0x1
	v_mul_f16_e32 v1, v23, v16
	s_wait_loadcnt 0x0
	v_fmac_f16_e32 v1, v22, v5
	v_mul_f16_e32 v5, v23, v5
	v_or_b32_e32 v23, 0x1000, v15
	s_delay_alu instid0(VALU_DEP_3) | instskip(NEXT) | instid1(VALU_DEP_3)
	v_cvt_f32_f16_e32 v0, v1
	v_fma_f16 v5, v22, v16, -v5
	s_wait_alu 0xfffd
	v_cndmask_b32_e32 v22, 0x7c00, v8, vcc_lo
	v_cmp_ne_u32_e32 vcc_lo, v2, v12
	v_bfe_u32 v16, v11, 20, 11
	v_cvt_f64_f32_e32 v[0:1], v0
	v_cvt_f32_f16_e32 v5, v5
	s_wait_alu 0xfffd
	v_cndmask_b32_e64 v2, 0, 1, vcc_lo
	v_cmp_gt_i32_e32 vcc_lo, 1, v19
	s_delay_alu instid0(VALU_DEP_3) | instskip(SKIP_1) | instid1(VALU_DEP_4)
	v_cvt_f64_f32_e32 v[8:9], v5
	v_sub_nc_u32_e32 v5, 0x3f1, v16
	v_or_b32_e32 v24, v13, v2
	s_delay_alu instid0(VALU_DEP_2) | instskip(SKIP_2) | instid1(VALU_DEP_3)
	v_med3_i32 v26, v5, 0, 13
	v_mul_f64_e32 v[12:13], s[10:11], v[0:1]
	s_wait_alu 0xfffd
	v_cndmask_b32_e32 v0, v25, v24, vcc_lo
	v_cmp_eq_u32_e32 vcc_lo, 0x40f, v14
	scratch_load_b32 v25, off, off offset:44 th:TH_LOAD_LU ; 4-byte Folded Reload
	v_lshrrev_b32_e32 v14, 16, v4
	ds_load_2addr_b32 v[1:2], v224 offset0:104 offset1:229
	v_and_b32_e32 v24, 7, v0
	s_wait_alu 0xfffd
	v_cndmask_b32_e32 v10, v22, v10, vcc_lo
	v_add_co_u32 v4, vcc_lo, v6, s14
	s_wait_alu 0xfffd
	v_add_co_ci_u32_e32 v5, vcc_lo, s15, v7, vcc_lo
	v_cmp_lt_i32_e32 vcc_lo, 5, v24
	v_cmp_eq_u32_e64 s0, 3, v24
	scratch_load_b32 v24, off, off offset:40 th:TH_LOAD_LU ; 4-byte Folded Reload
	v_lshrrev_b32_e32 v22, v26, v23
	v_lshrrev_b32_e32 v0, 2, v0
	v_and_or_b32 v10, 0x8000, v14, v10
	v_add_nc_u32_e32 v14, 0xfffffc10, v16
	s_or_b32 vcc_lo, s0, vcc_lo
	v_lshlrev_b32_e32 v6, v26, v22
	s_wait_alu 0xfffe
	v_add_co_ci_u32_e32 v0, vcc_lo, 0, v0, vcc_lo
	v_cmp_gt_i32_e32 vcc_lo, 1, v14
	s_delay_alu instid0(VALU_DEP_3) | instskip(SKIP_3) | instid1(VALU_DEP_2)
	v_cmp_ne_u32_e64 s1, v6, v23
	s_wait_dscnt 0x0
	v_lshrrev_b32_e32 v16, 16, v1
	s_wait_alu 0xf1ff
	v_cndmask_b32_e64 v6, 0, 1, s1
	s_delay_alu instid0(VALU_DEP_1)
	v_or_b32_e32 v21, v22, v6
	v_lshl_or_b32 v22, v14, 12, v15
	v_mul_f64_e32 v[6:7], s[10:11], v[8:9]
	v_and_b32_e32 v8, 0xffff, v17
	v_and_or_b32 v12, 0x1ff, v13, v12
	s_wait_alu 0xfffd
	v_cndmask_b32_e32 v17, v22, v21, vcc_lo
	v_cmp_ne_u32_e32 vcc_lo, 0, v20
	v_lshl_or_b32 v22, v10, 16, v8
	s_delay_alu instid0(VALU_DEP_3) | instskip(SKIP_3) | instid1(VALU_DEP_3)
	v_and_b32_e32 v10, 7, v17
	s_wait_alu 0xfffd
	v_cndmask_b32_e64 v9, 0, 1, vcc_lo
	v_cmp_gt_i32_e32 vcc_lo, 31, v19
	v_cmp_eq_u32_e64 s0, 3, v10
	s_delay_alu instid0(VALU_DEP_3)
	v_lshl_or_b32 v21, v9, 9, 0x7c00
	s_wait_alu 0xfffd
	v_cndmask_b32_e32 v0, 0x7c00, v0, vcc_lo
	v_cmp_eq_u32_e32 vcc_lo, 0x40f, v19
	v_lshrrev_b32_e32 v19, 8, v13
	s_wait_alu 0xfffd
	s_delay_alu instid0(VALU_DEP_3) | instskip(SKIP_1) | instid1(VALU_DEP_2)
	v_cndmask_b32_e32 v0, v0, v21, vcc_lo
	v_cmp_ne_u32_e32 vcc_lo, 0, v12
	v_and_or_b32 v3, 0x8000, v3, v0
	s_wait_alu 0xfffd
	v_cndmask_b32_e64 v12, 0, 1, vcc_lo
	v_cmp_lt_i32_e32 vcc_lo, 5, v10
	v_lshrrev_b32_e32 v0, 2, v17
	v_and_b32_e32 v3, 0xffff, v3
	s_delay_alu instid0(VALU_DEP_4)
	v_and_or_b32 v12, 0xffe, v19, v12
	s_or_b32 vcc_lo, s0, vcc_lo
	s_wait_alu 0xfffe
	v_add_co_ci_u32_e32 v0, vcc_lo, 0, v0, vcc_lo
	v_cmp_ne_u32_e32 vcc_lo, 0, v15
	v_and_or_b32 v6, 0x1ff, v7, v6
	v_or_b32_e32 v17, 0x1000, v12
	v_bfe_u32 v21, v7, 20, 11
	s_wait_alu 0xfffd
	v_cndmask_b32_e64 v15, 0, 1, vcc_lo
	v_cmp_gt_i32_e32 vcc_lo, 31, v14
	s_delay_alu instid0(VALU_DEP_2) | instskip(SKIP_4) | instid1(VALU_DEP_2)
	v_lshl_or_b32 v15, v15, 9, 0x7c00
	s_wait_alu 0xfffd
	v_cndmask_b32_e32 v0, 0x7c00, v0, vcc_lo
	v_cmp_eq_u32_e32 vcc_lo, 0x40f, v14
	s_wait_alu 0xfffd
	v_cndmask_b32_e32 v19, v0, v15, vcc_lo
	v_cmp_ne_u32_e32 vcc_lo, 0, v6
	v_lshrrev_b32_e32 v6, 8, v7
	v_lshrrev_b32_e32 v7, 16, v7
	s_wait_alu 0xfffd
	v_cndmask_b32_e64 v0, 0, 1, vcc_lo
	s_wait_loadcnt 0x1
	v_mul_f16_e32 v23, v25, v16
	s_wait_loadcnt 0x0
	s_delay_alu instid0(VALU_DEP_1) | instskip(SKIP_1) | instid1(VALU_DEP_2)
	v_fmac_f16_e32 v23, v24, v1
	v_mul_f16_e32 v1, v25, v1
	v_cvt_f32_f16_e32 v20, v23
	s_delay_alu instid0(VALU_DEP_2)
	v_fma_f16 v1, v24, v16, -v1
	v_and_or_b32 v24, 0xffe, v6, v0
	v_sub_nc_u32_e32 v6, 0x3f1, v21
	v_lshrrev_b32_e32 v23, 16, v11
	v_cvt_f64_f32_e32 v[8:9], v20
	v_bfe_u32 v20, v13, 20, 11
	v_or_b32_e32 v25, 0x1000, v24
	v_med3_i32 v6, v6, 0, 13
	v_cvt_f32_f16_e32 v1, v1
	v_and_or_b32 v19, 0x8000, v23, v19
	v_sub_nc_u32_e32 v10, 0x3f1, v20
	v_add_nc_u32_e32 v20, 0xfffffc10, v20
	v_lshrrev_b32_e32 v23, v6, v25
	v_cvt_f64_f32_e32 v[14:15], v1
	ds_load_2addr_b32 v[0:1], v185 offset0:74 offset1:199
	v_med3_i32 v10, v10, 0, 13
	v_add_nc_u32_e32 v21, 0xfffffc10, v21
	s_delay_alu instid0(VALU_DEP_2) | instskip(NEXT) | instid1(VALU_DEP_2)
	v_lshrrev_b32_e32 v16, v10, v17
	v_cmp_gt_i32_e64 s1, 1, v21
	s_delay_alu instid0(VALU_DEP_2) | instskip(NEXT) | instid1(VALU_DEP_1)
	v_lshlrev_b32_e32 v10, v10, v16
	v_cmp_ne_u32_e32 vcc_lo, v10, v17
	s_wait_alu 0xfffd
	v_cndmask_b32_e64 v17, 0, 1, vcc_lo
	v_add_co_u32 v10, vcc_lo, v4, s8
	s_wait_alu 0xfffd
	v_add_co_ci_u32_e32 v11, vcc_lo, s9, v5, vcc_lo
	global_store_b32 v[4:5], v18, off
	global_store_b32 v[10:11], v22, off
	v_lshlrev_b32_e32 v4, v6, v23
	scratch_load_b32 v22, off, off offset:36 th:TH_LOAD_LU ; 4-byte Folded Reload
	v_mul_f64_e32 v[8:9], s[10:11], v[8:9]
	v_or_b32_e32 v16, v16, v17
	v_lshl_or_b32 v17, v20, 12, v12
	v_cmp_ne_u32_e64 s0, v4, v25
	s_clause 0x1
	scratch_load_b32 v25, off, off offset:32 th:TH_LOAD_LU
	scratch_load_b32 v26, off, off offset:28 th:TH_LOAD_LU
	v_cmp_gt_i32_e32 vcc_lo, 1, v20
	s_wait_dscnt 0x0
	v_lshrrev_b32_e32 v18, 16, v0
	s_wait_alu 0xf1ff
	v_cndmask_b32_e64 v4, 0, 1, s0
	scratch_load_b32 v28, off, off offset:12 th:TH_LOAD_LU ; 4-byte Folded Reload
	s_wait_alu 0xfffd
	v_cndmask_b32_e32 v16, v17, v16, vcc_lo
	v_lshl_or_b32 v17, v19, 16, v3
	v_add_co_u32 v5, vcc_lo, v10, s14
	s_wait_alu 0xfffd
	v_add_co_ci_u32_e32 v6, vcc_lo, s15, v11, vcc_lo
	v_and_b32_e32 v3, 7, v16
	v_mul_f64_e32 v[10:11], s[10:11], v[14:15]
	v_lshrrev_b32_e32 v14, 2, v16
	global_store_b32 v[5:6], v17, off
	v_cmp_lt_i32_e32 vcc_lo, 5, v3
	v_cmp_eq_u32_e64 s0, 3, v3
	v_or_b32_e32 v3, v23, v4
	v_lshl_or_b32 v4, v21, 12, v24
	v_lshrrev_b32_e32 v23, 16, v13
	s_delay_alu instid0(VALU_DEP_4) | instskip(NEXT) | instid1(VALU_DEP_2)
	s_or_b32 vcc_lo, s0, vcc_lo
	v_cndmask_b32_e64 v16, v4, v3, s1
	s_wait_alu 0xfffe
	v_add_co_ci_u32_e32 v14, vcc_lo, 0, v14, vcc_lo
	v_cmp_ne_u32_e32 vcc_lo, 0, v12
	v_and_or_b32 v8, 0x1ff, v9, v8
	s_wait_alu 0xfffd
	v_cndmask_b32_e64 v12, 0, 1, vcc_lo
	s_delay_alu instid0(VALU_DEP_2) | instskip(NEXT) | instid1(VALU_DEP_2)
	v_cmp_ne_u32_e64 s1, 0, v8
	v_lshl_or_b32 v12, v12, 9, 0x7c00
	s_wait_alu 0xf1ff
	s_delay_alu instid0(VALU_DEP_2) | instskip(SKIP_2) | instid1(VALU_DEP_1)
	v_cndmask_b32_e64 v8, 0, 1, s1
	v_cmp_gt_i32_e64 s1, 31, v20
	s_wait_alu 0xf1ff
	v_cndmask_b32_e64 v14, 0x7c00, v14, s1
	v_and_or_b32 v10, 0x1ff, v11, v10
	s_wait_loadcnt 0x3
	v_mul_f16_e32 v19, v22, v18
	s_wait_loadcnt 0x2
	s_delay_alu instid0(VALU_DEP_1) | instskip(SKIP_2) | instid1(VALU_DEP_3)
	v_fmac_f16_e32 v19, v25, v0
	v_mul_f16_e32 v0, v22, v0
	v_bfe_u32 v22, v9, 20, 11
	v_cvt_f32_f16_e32 v15, v19
	v_lshrrev_b32_e32 v19, 8, v9
	s_delay_alu instid0(VALU_DEP_4) | instskip(SKIP_1) | instid1(VALU_DEP_4)
	v_fma_f16 v0, v25, v18, -v0
	v_bfe_u32 v25, v11, 20, 11
	v_cvt_f64_f32_e32 v[3:4], v15
	s_delay_alu instid0(VALU_DEP_4)
	v_and_or_b32 v19, 0xffe, v19, v8
	v_and_b32_e32 v8, 7, v16
	v_sub_nc_u32_e32 v15, 0x3f1, v22
	v_lshrrev_b32_e32 v16, 2, v16
	v_cvt_f32_f16_e32 v0, v0
	v_add_nc_u32_e32 v22, 0xfffffc10, v22
	v_cmp_lt_i32_e32 vcc_lo, 5, v8
	v_cmp_eq_u32_e64 s0, 3, v8
	v_or_b32_e32 v8, 0x1000, v19
	v_med3_i32 v15, v15, 0, 13
	s_delay_alu instid0(VALU_DEP_3) | instskip(SKIP_2) | instid1(VALU_DEP_2)
	s_or_b32 vcc_lo, s0, vcc_lo
	s_wait_alu 0xfffe
	v_add_co_ci_u32_e32 v16, vcc_lo, 0, v16, vcc_lo
	v_lshrrev_b32_e32 v18, v15, v8
	v_cmp_eq_u32_e32 vcc_lo, 0x40f, v20
	s_wait_alu 0xfffd
	v_cndmask_b32_e32 v20, v14, v12, vcc_lo
	s_delay_alu instid0(VALU_DEP_3) | instskip(SKIP_2) | instid1(VALU_DEP_4)
	v_lshlrev_b32_e32 v14, v15, v18
	v_cmp_gt_i32_e32 vcc_lo, 31, v21
	v_cvt_f64_f32_e32 v[12:13], v0
	v_and_or_b32 v20, 0x8000, v23, v20
	s_wait_alu 0xfffd
	v_cndmask_b32_e32 v0, 0x7c00, v16, vcc_lo
	v_cmp_ne_u32_e32 vcc_lo, v14, v8
	v_lshrrev_b32_e32 v16, 8, v11
	v_and_b32_e32 v17, 0xffff, v20
	s_wait_alu 0xfffd
	v_cndmask_b32_e64 v8, 0, 1, vcc_lo
	v_cmp_ne_u32_e32 vcc_lo, 0, v10
	v_mul_f64_e32 v[14:15], s[10:11], v[3:4]
	v_sub_nc_u32_e32 v4, 0x3f1, v25
	s_delay_alu instid0(VALU_DEP_4) | instskip(SKIP_4) | instid1(VALU_DEP_3)
	v_or_b32_e32 v8, v18, v8
	s_wait_alu 0xfffd
	v_cndmask_b32_e64 v10, 0, 1, vcc_lo
	v_cmp_ne_u32_e32 vcc_lo, 0, v24
	v_med3_i32 v24, v4, 0, 13
	v_and_or_b32 v10, 0xffe, v16, v10
	s_wait_alu 0xfffd
	v_cndmask_b32_e64 v3, 0, 1, vcc_lo
	v_lshl_or_b32 v16, v22, 12, v19
	v_cmp_gt_i32_e32 vcc_lo, 1, v22
	v_or_b32_e32 v18, 0x1000, v10
	s_delay_alu instid0(VALU_DEP_4)
	v_lshl_or_b32 v3, v3, 9, 0x7c00
	s_wait_alu 0xfffd
	v_cndmask_b32_e32 v8, v16, v8, vcc_lo
	v_cmp_eq_u32_e32 vcc_lo, 0x40f, v21
	v_lshrrev_b32_e32 v16, v24, v18
	s_wait_alu 0xfffd
	s_delay_alu instid0(VALU_DEP_3) | instskip(NEXT) | instid1(VALU_DEP_2)
	v_dual_cndmask_b32 v0, v0, v3 :: v_dual_and_b32 v21, 7, v8
	v_lshlrev_b32_e32 v23, v24, v16
	v_lshrrev_b32_e32 v20, 2, v8
	ds_load_2addr_b32 v[3:4], v154 offset0:44 offset1:169
	v_cmp_lt_i32_e32 vcc_lo, 5, v21
	v_cmp_eq_u32_e64 s0, 3, v21
	v_add_nc_u32_e32 v21, 0xfffffc10, v25
	scratch_load_b32 v25, off, off offset:24 th:TH_LOAD_LU ; 4-byte Folded Reload
	v_cmp_ne_u32_e64 s1, v23, v18
	v_and_or_b32 v0, 0x8000, v7, v0
	v_mul_f64_e32 v[7:8], s[10:11], v[12:13]
	s_or_b32 vcc_lo, s0, vcc_lo
	s_wait_alu 0xfffe
	v_add_co_ci_u32_e32 v12, vcc_lo, 0, v20, vcc_lo
	v_cndmask_b32_e64 v18, 0, 1, s1
	v_cmp_ne_u32_e32 vcc_lo, 0, v19
	v_and_or_b32 v14, 0x1ff, v15, v14
	v_lshrrev_b32_e32 v23, 8, v15
	v_bfe_u32 v24, v15, 20, 11
	v_or_b32_e32 v13, v16, v18
	v_lshl_or_b32 v16, v21, 12, v10
	s_wait_alu 0xfffd
	v_cndmask_b32_e64 v19, 0, 1, vcc_lo
	v_cmp_gt_i32_e32 vcc_lo, 1, v21
	s_wait_dscnt 0x0
	v_lshrrev_b32_e32 v18, 16, v3
	v_cmp_eq_u32_e64 s1, 0x40f, v22
	v_lshl_or_b32 v0, v0, 16, v17
	v_lshl_or_b32 v19, v19, 9, 0x7c00
	s_wait_alu 0xfffd
	v_cndmask_b32_e32 v16, v16, v13, vcc_lo
	v_cmp_gt_i32_e32 vcc_lo, 31, v22
	s_wait_loadcnt 0x2
	v_mul_f16_e32 v13, v26, v18
	s_wait_alu 0xfffd
	v_cndmask_b32_e32 v20, 0x7c00, v12, vcc_lo
	v_cmp_ne_u32_e32 vcc_lo, 0, v14
	v_and_b32_e32 v12, 7, v16
	v_lshrrev_b32_e32 v16, 2, v16
	s_wait_alu 0xf1ff
	v_cndmask_b32_e64 v19, v20, v19, s1
	s_wait_alu 0xfffd
	v_cndmask_b32_e64 v14, 0, 1, vcc_lo
	v_cmp_lt_i32_e32 vcc_lo, 5, v12
	v_cmp_eq_u32_e64 s0, 3, v12
	s_delay_alu instid0(VALU_DEP_3) | instskip(SKIP_1) | instid1(VALU_DEP_3)
	v_and_or_b32 v23, 0xffe, v23, v14
	v_sub_nc_u32_e32 v14, 0x3f1, v24
	s_or_b32 vcc_lo, s0, vcc_lo
	v_and_or_b32 v7, 0x1ff, v8, v7
	s_wait_alu 0xfffe
	v_add_co_ci_u32_e32 v16, vcc_lo, 0, v16, vcc_lo
	v_or_b32_e32 v20, 0x1000, v23
	v_med3_i32 v14, v14, 0, 13
	v_cmp_ne_u32_e32 vcc_lo, 0, v10
	v_bfe_u32 v27, v8, 20, 11
	s_delay_alu instid0(VALU_DEP_3) | instskip(SKIP_3) | instid1(VALU_DEP_3)
	v_lshrrev_b32_e32 v22, v14, v20
	s_wait_alu 0xfffd
	v_cndmask_b32_e64 v10, 0, 1, vcc_lo
	v_cmp_gt_i32_e32 vcc_lo, 31, v21
	v_lshlrev_b32_e32 v14, v14, v22
	s_wait_alu 0xfffd
	v_cndmask_b32_e32 v16, 0x7c00, v16, vcc_lo
	v_cmp_ne_u32_e32 vcc_lo, 0, v7
	s_wait_alu 0xfffd
	v_cndmask_b32_e64 v7, 0, 1, vcc_lo
	v_cmp_ne_u32_e32 vcc_lo, v14, v20
	v_add_nc_u32_e32 v20, 0xfffffc10, v24
	v_sub_nc_u32_e32 v14, 0x3f1, v27
	v_lshrrev_b32_e32 v24, 16, v11
	s_delay_alu instid0(VALU_DEP_2)
	v_med3_i32 v14, v14, 0, 13
	s_wait_loadcnt 0x0
	v_fmac_f16_e32 v13, v25, v3
	v_mul_f16_e32 v3, v26, v3
	v_lshrrev_b32_e32 v26, 8, v8
	v_lshrrev_b32_e32 v8, 16, v8
	s_delay_alu instid0(VALU_DEP_4) | instskip(NEXT) | instid1(VALU_DEP_4)
	v_cvt_f32_f16_e32 v13, v13
	v_fma_f16 v3, v25, v18, -v3
	v_lshrrev_b32_e32 v18, 16, v9
	v_lshl_or_b32 v25, v10, 9, 0x7c00
	v_and_or_b32 v7, 0xffe, v26, v7
	scratch_load_b32 v26, off, off offset:16 th:TH_LOAD_LU ; 4-byte Folded Reload
	v_cvt_f32_f16_e32 v3, v3
	v_cvt_f64_f32_e32 v[12:13], v13
	s_delay_alu instid0(VALU_DEP_2) | instskip(SKIP_4) | instid1(VALU_DEP_3)
	v_cvt_f64_f32_e32 v[9:10], v3
	s_wait_alu 0xfffd
	v_cndmask_b32_e64 v3, 0, 1, vcc_lo
	v_cmp_eq_u32_e32 vcc_lo, 0x40f, v21
	v_lshl_or_b32 v21, v20, 12, v23
	v_or_b32_e32 v3, v22, v3
	s_wait_alu 0xfffd
	v_cndmask_b32_e32 v16, v16, v25, vcc_lo
	scratch_load_b32 v25, off, off offset:20 th:TH_LOAD_LU ; 4-byte Folded Reload
	v_cmp_gt_i32_e32 vcc_lo, 1, v20
	v_or_b32_e32 v22, 0x1000, v7
	v_and_or_b32 v16, 0x8000, v24, v16
	v_lshrrev_b32_e32 v24, 16, v2
	s_wait_alu 0xfffd
	v_cndmask_b32_e32 v3, v21, v3, vcc_lo
	v_mul_f64_e32 v[11:12], s[10:11], v[12:13]
	v_and_or_b32 v13, 0x8000, v18, v19
	v_lshrrev_b32_e32 v18, v14, v22
	s_delay_alu instid0(VALU_DEP_4)
	v_and_b32_e32 v19, 7, v3
	v_lshrrev_b32_e32 v3, 2, v3
	v_mul_f64_e32 v[9:10], s[10:11], v[9:10]
	v_and_b32_e32 v17, 0xffff, v13
	v_add_co_u32 v13, vcc_lo, v5, s14
	v_lshlrev_b32_e32 v21, v14, v18
	s_wait_alu 0xfffd
	v_add_co_ci_u32_e32 v14, vcc_lo, s15, v6, vcc_lo
	v_cmp_lt_i32_e32 vcc_lo, 5, v19
	v_cmp_eq_u32_e64 s0, 3, v19
	v_cmp_ne_u32_e64 s1, v21, v22
	v_add_nc_u32_e32 v19, 0xfffffc10, v27
	v_lshl_or_b32 v22, v16, 16, v17
	s_delay_alu instid0(VALU_DEP_4) | instskip(NEXT) | instid1(VALU_DEP_3)
	s_or_b32 vcc_lo, s0, vcc_lo
	v_cndmask_b32_e64 v6, 0, 1, s1
	s_wait_alu 0xfffe
	v_add_co_ci_u32_e32 v3, vcc_lo, 0, v3, vcc_lo
	v_cmp_ne_u32_e32 vcc_lo, 0, v23
	s_delay_alu instid0(VALU_DEP_3) | instskip(SKIP_4) | instid1(VALU_DEP_2)
	v_or_b32_e32 v6, v18, v6
	v_lshl_or_b32 v18, v19, 12, v7
	s_wait_alu 0xfffd
	v_cndmask_b32_e64 v21, 0, 1, vcc_lo
	v_cmp_gt_i32_e32 vcc_lo, 1, v19
	v_lshl_or_b32 v21, v21, 9, 0x7c00
	s_wait_alu 0xfffd
	v_cndmask_b32_e32 v18, v18, v6, vcc_lo
	v_cmp_gt_i32_e32 vcc_lo, 31, v20
	v_and_or_b32 v11, 0x1ff, v12, v11
	s_wait_alu 0xfffd
	v_cndmask_b32_e32 v3, 0x7c00, v3, vcc_lo
	v_and_b32_e32 v23, 7, v18
	s_delay_alu instid0(VALU_DEP_3) | instskip(SKIP_4) | instid1(VALU_DEP_1)
	v_cmp_ne_u32_e64 s0, 0, v11
	v_lshrrev_b32_e32 v11, 8, v12
	v_and_or_b32 v9, 0x1ff, v10, v9
	s_wait_loadcnt 0x0
	v_mul_f16_e32 v5, v25, v24
	v_fmac_f16_e32 v5, v26, v2
	v_mul_f16_e32 v2, v25, v2
	s_delay_alu instid0(VALU_DEP_2) | instskip(NEXT) | instid1(VALU_DEP_2)
	v_cvt_f32_f16_e32 v5, v5
	v_fma_f16 v24, v26, v24, -v2
	s_delay_alu instid0(VALU_DEP_2)
	v_cvt_f64_f32_e32 v[16:17], v5
	v_add_co_u32 v5, vcc_lo, v13, s8
	s_wait_alu 0xfffd
	v_add_co_ci_u32_e32 v6, vcc_lo, s9, v14, vcc_lo
	v_cmp_eq_u32_e32 vcc_lo, 0x40f, v20
	s_wait_alu 0xfffd
	v_cndmask_b32_e32 v20, v3, v21, vcc_lo
	v_cmp_lt_i32_e32 vcc_lo, 5, v23
	s_wait_alu 0xf1ff
	v_cndmask_b32_e64 v3, 0, 1, s0
	v_cmp_eq_u32_e64 s0, 3, v23
	v_lshrrev_b32_e32 v23, 16, v15
	v_lshrrev_b32_e32 v15, 2, v18
	v_bfe_u32 v21, v12, 20, 11
	v_and_or_b32 v11, 0xffe, v11, v3
	s_or_b32 vcc_lo, s0, vcc_lo
	v_and_or_b32 v20, 0x8000, v23, v20
	s_wait_alu 0xfffe
	v_add_co_ci_u32_e32 v15, vcc_lo, 0, v15, vcc_lo
	v_sub_nc_u32_e32 v3, 0x3f1, v21
	v_cmp_ne_u32_e32 vcc_lo, 0, v7
	v_or_b32_e32 v18, 0x1000, v11
	v_lshrrev_b32_e32 v12, 16, v12
	s_delay_alu instid0(VALU_DEP_4) | instskip(SKIP_3) | instid1(VALU_DEP_3)
	v_med3_i32 v3, v3, 0, 13
	s_wait_alu 0xfffd
	v_cndmask_b32_e64 v7, 0, 1, vcc_lo
	v_cmp_gt_i32_e32 vcc_lo, 31, v19
	v_lshrrev_b32_e32 v25, v3, v18
	s_delay_alu instid0(VALU_DEP_3)
	v_lshl_or_b32 v7, v7, 9, 0x7c00
	s_wait_alu 0xfffd
	v_cndmask_b32_e32 v26, 0x7c00, v15, vcc_lo
	v_cmp_ne_u32_e32 vcc_lo, 0, v9
	v_cvt_f32_f16_e32 v15, v24
	v_lshlrev_b32_e32 v27, v3, v25
	v_mul_f64_e32 v[2:3], s[10:11], v[16:17]
	v_lshrrev_b32_e32 v17, 8, v10
	s_wait_alu 0xfffd
	v_cndmask_b32_e64 v9, 0, 1, vcc_lo
	v_cmp_eq_u32_e32 vcc_lo, 0x40f, v19
	v_add_nc_u32_e32 v19, 0xfffffc10, v21
	v_bfe_u32 v24, v10, 20, 11
	v_cvt_f64_f32_e32 v[15:16], v15
	v_and_or_b32 v9, 0xffe, v17, v9
	s_wait_alu 0xfffd
	v_cndmask_b32_e32 v7, v26, v7, vcc_lo
	v_cmp_ne_u32_e32 vcc_lo, v27, v18
	v_sub_nc_u32_e32 v17, 0x3f1, v24
	v_lshrrev_b32_e32 v26, 16, v1
	v_or_b32_e32 v21, 0x1000, v9
	v_and_or_b32 v7, 0x8000, v8, v7
	s_wait_alu 0xfffd
	v_cndmask_b32_e64 v18, 0, 1, vcc_lo
	v_cmp_gt_i32_e32 vcc_lo, 1, v19
	v_med3_i32 v17, v17, 0, 13
	v_lshrrev_b32_e32 v10, 16, v10
	s_delay_alu instid0(VALU_DEP_4) | instskip(SKIP_1) | instid1(VALU_DEP_4)
	v_or_b32_e32 v18, v25, v18
	v_lshl_or_b32 v25, v19, 12, v11
	v_lshrrev_b32_e32 v27, v17, v21
	s_wait_alu 0xfffd
	s_delay_alu instid0(VALU_DEP_2)
	v_cndmask_b32_e32 v18, v25, v18, vcc_lo
	scratch_load_b32 v25, off, off offset:8 th:TH_LOAD_LU ; 4-byte Folded Reload
	v_lshlrev_b32_e32 v8, v17, v27
	v_and_b32_e32 v17, 0xffff, v20
	global_store_b32 v[13:14], v0, off
	global_store_b32 v[5:6], v22, off
	v_and_b32_e32 v20, 7, v18
	v_lshrrev_b32_e32 v18, 2, v18
	v_cmp_ne_u32_e64 s0, v8, v21
	v_lshl_or_b32 v0, v7, 16, v17
	v_add_nc_u32_e32 v17, 0xfffffc10, v24
	v_cmp_lt_i32_e32 vcc_lo, 5, v20
	v_mul_f16_e32 v23, v28, v26
	s_wait_alu 0xf1ff
	v_cndmask_b32_e64 v13, 0, 1, s0
	v_cmp_eq_u32_e64 s0, 3, v20
	v_and_or_b32 v2, 0x1ff, v3, v2
	v_lshl_or_b32 v21, v17, 12, v9
	scratch_load_b32 v24, off, off th:TH_LOAD_LU ; 4-byte Folded Reload
	v_or_b32_e32 v20, v27, v13
	s_or_b32 vcc_lo, s0, vcc_lo
	v_cmp_ne_u32_e64 s1, 0, v2
	s_wait_alu 0xfffe
	v_add_co_ci_u32_e32 v18, vcc_lo, 0, v18, vcc_lo
	v_cmp_gt_i32_e32 vcc_lo, 1, v17
	v_mul_f64_e32 v[13:14], s[10:11], v[15:16]
	s_wait_alu 0xf1ff
	v_cndmask_b32_e64 v2, 0, 1, s1
	v_lshrrev_b32_e32 v15, 8, v3
	v_bfe_u32 v16, v3, 20, 11
	s_wait_alu 0xfffd
	v_cndmask_b32_e32 v20, v21, v20, vcc_lo
	v_cmp_ne_u32_e32 vcc_lo, 0, v11
	v_cmp_eq_u32_e64 s1, 0x40f, v19
	v_and_or_b32 v15, 0xffe, v15, v2
	v_sub_nc_u32_e32 v2, 0x3f1, v16
	v_and_b32_e32 v21, 7, v20
	s_wait_alu 0xfffd
	v_cndmask_b32_e64 v11, 0, 1, vcc_lo
	v_cmp_gt_i32_e32 vcc_lo, 31, v19
	v_or_b32_e32 v22, 0x1000, v15
	v_med3_i32 v2, v2, 0, 13
	v_cmp_eq_u32_e64 s0, 3, v21
	v_lshl_or_b32 v11, v11, 9, 0x7c00
	s_wait_alu 0xfffd
	v_cndmask_b32_e32 v18, 0x7c00, v18, vcc_lo
	v_cmp_lt_i32_e32 vcc_lo, 5, v21
	v_lshrrev_b32_e32 v20, 2, v20
	v_add_nc_u32_e32 v16, 0xfffffc10, v16
	v_lshrrev_b32_e32 v21, 16, v4
	s_wait_alu 0xf1ff
	v_cndmask_b32_e64 v11, v18, v11, s1
	s_or_b32 vcc_lo, s0, vcc_lo
	v_lshrrev_b32_e32 v3, 16, v3
	s_wait_alu 0xfffe
	v_add_co_ci_u32_e32 v18, vcc_lo, 0, v20, vcc_lo
	v_cmp_ne_u32_e32 vcc_lo, 0, v9
	v_lshl_or_b32 v19, v16, 12, v15
	v_and_or_b32 v20, 0x8000, v12, v11
	s_wait_alu 0xfffd
	v_cndmask_b32_e64 v9, 0, 1, vcc_lo
	s_delay_alu instid0(VALU_DEP_2) | instskip(NEXT) | instid1(VALU_DEP_2)
	v_and_b32_e32 v20, 0xffff, v20
	v_lshl_or_b32 v9, v9, 9, 0x7c00
	v_and_or_b32 v13, 0x1ff, v14, v13
	s_wait_loadcnt 0x1
	v_fmac_f16_e32 v23, v25, v1
	v_mul_f16_e32 v1, v28, v1
	s_delay_alu instid0(VALU_DEP_2) | instskip(SKIP_1) | instid1(VALU_DEP_3)
	v_cvt_f32_f16_e32 v7, v23
	v_lshrrev_b32_e32 v23, v2, v22
	v_fma_f16 v1, v25, v26, -v1
	s_delay_alu instid0(VALU_DEP_3) | instskip(NEXT) | instid1(VALU_DEP_3)
	v_cvt_f64_f32_e32 v[7:8], v7
	v_lshlrev_b32_e32 v2, v2, v23
	s_delay_alu instid0(VALU_DEP_3) | instskip(NEXT) | instid1(VALU_DEP_2)
	v_cvt_f32_f16_e32 v1, v1
	v_cmp_ne_u32_e32 vcc_lo, v2, v22
	s_wait_alu 0xfffd
	v_cndmask_b32_e64 v2, 0, 1, vcc_lo
	v_cmp_gt_i32_e32 vcc_lo, 31, v17
	s_delay_alu instid0(VALU_DEP_2)
	v_or_b32_e32 v2, v23, v2
	scratch_load_b32 v23, off, off offset:4 th:TH_LOAD_LU ; 4-byte Folded Reload
	s_wait_alu 0xfffd
	v_cndmask_b32_e32 v18, 0x7c00, v18, vcc_lo
	v_cmp_gt_i32_e32 vcc_lo, 1, v16
	s_wait_alu 0xfffd
	v_cndmask_b32_e32 v11, v19, v2, vcc_lo
	v_cmp_ne_u32_e32 vcc_lo, 0, v13
	v_lshrrev_b32_e32 v13, 8, v14
	v_cvt_f64_f32_e32 v[1:2], v1
	v_bfe_u32 v19, v14, 20, 11
	v_lshrrev_b32_e32 v14, 16, v14
	s_wait_alu 0xfffd
	v_cndmask_b32_e64 v12, 0, 1, vcc_lo
	v_cmp_eq_u32_e32 vcc_lo, 0x40f, v17
	v_and_b32_e32 v17, 7, v11
	s_delay_alu instid0(VALU_DEP_3)
	v_and_or_b32 v13, 0xffe, v13, v12
	s_wait_alu 0xfffd
	v_cndmask_b32_e32 v9, v18, v9, vcc_lo
	v_sub_nc_u32_e32 v12, 0x3f1, v19
	v_mul_f64_e32 v[7:8], s[10:11], v[7:8]
	v_cmp_lt_i32_e32 vcc_lo, 5, v17
	v_cmp_eq_u32_e64 s0, 3, v17
	v_and_or_b32 v17, 0x8000, v10, v9
	v_lshrrev_b32_e32 v9, 2, v11
	v_or_b32_e32 v22, 0x1000, v13
	v_med3_i32 v12, v12, 0, 13
	s_or_b32 vcc_lo, s0, vcc_lo
	v_add_nc_u32_e32 v19, 0xfffffc10, v19
	v_lshl_or_b32 v17, v17, 16, v20
	s_delay_alu instid0(VALU_DEP_3) | instskip(NEXT) | instid1(VALU_DEP_1)
	v_lshrrev_b32_e32 v11, v12, v22
	v_lshlrev_b32_e32 v12, v12, v11
	v_mul_f64_e32 v[1:2], s[10:11], v[1:2]
	v_and_or_b32 v7, 0x1ff, v8, v7
	s_delay_alu instid0(VALU_DEP_2) | instskip(SKIP_2) | instid1(VALU_DEP_1)
	v_and_or_b32 v1, 0x1ff, v2, v1
	s_wait_loadcnt 0x0
	v_mul_f16_e32 v18, v23, v21
	v_fmac_f16_e32 v18, v24, v4
	v_mul_f16_e32 v4, v23, v4
	v_lshrrev_b32_e32 v23, 8, v8
	s_delay_alu instid0(VALU_DEP_3)
	v_cvt_f32_f16_e32 v10, v18
	s_wait_alu 0xfffe
	v_add_co_ci_u32_e32 v18, vcc_lo, 0, v9, vcc_lo
	v_cmp_ne_u32_e32 vcc_lo, 0, v15
	v_fma_f16 v4, v24, v21, -v4
	v_cvt_f64_f32_e32 v[9:10], v10
	v_bfe_u32 v21, v8, 20, 11
	v_lshl_or_b32 v24, v19, 12, v13
	s_wait_alu 0xfffd
	v_cndmask_b32_e64 v15, 0, 1, vcc_lo
	v_cmp_ne_u32_e32 vcc_lo, 0, v7
	v_cvt_f32_f16_e32 v4, v4
	v_lshrrev_b32_e32 v8, 16, v8
	s_delay_alu instid0(VALU_DEP_4) | instskip(SKIP_3) | instid1(VALU_DEP_2)
	v_lshl_or_b32 v15, v15, 9, 0x7c00
	s_wait_alu 0xfffd
	v_cndmask_b32_e64 v7, 0, 1, vcc_lo
	v_cmp_ne_u32_e32 vcc_lo, v12, v22
	v_and_or_b32 v22, 0xffe, v23, v7
	s_wait_alu 0xfffd
	v_cndmask_b32_e64 v12, 0, 1, vcc_lo
	v_cmp_gt_i32_e32 vcc_lo, 31, v16
	v_sub_nc_u32_e32 v7, 0x3f1, v21
	v_or_b32_e32 v25, 0x1000, v22
	s_delay_alu instid0(VALU_DEP_4)
	v_or_b32_e32 v23, v11, v12
	v_cvt_f64_f32_e32 v[11:12], v4
	s_wait_alu 0xfffd
	v_cndmask_b32_e32 v18, 0x7c00, v18, vcc_lo
	v_cmp_gt_i32_e32 vcc_lo, 1, v19
	v_med3_i32 v7, v7, 0, 13
	s_wait_alu 0xfffd
	v_cndmask_b32_e32 v23, v24, v23, vcc_lo
	v_add_co_u32 v4, vcc_lo, v5, s14
	s_wait_alu 0xfffd
	v_add_co_ci_u32_e32 v5, vcc_lo, s15, v6, vcc_lo
	s_delay_alu instid0(VALU_DEP_3) | instskip(SKIP_3) | instid1(VALU_DEP_4)
	v_and_b32_e32 v6, 7, v23
	v_cmp_eq_u32_e32 vcc_lo, 0x40f, v16
	v_lshrrev_b32_e32 v26, v7, v25
	v_add_nc_u32_e32 v16, 0xfffffc10, v21
	v_cmp_eq_u32_e64 s0, 3, v6
	s_wait_alu 0xfffd
	v_cndmask_b32_e32 v15, v18, v15, vcc_lo
	v_cmp_lt_i32_e32 vcc_lo, 5, v6
	v_lshlrev_b32_e32 v24, v7, v26
	v_mul_f64_e32 v[6:7], s[10:11], v[9:10]
	v_lshrrev_b32_e32 v9, 2, v23
	v_lshl_or_b32 v20, v16, 12, v22
	s_or_b32 vcc_lo, s0, vcc_lo
	v_cmp_ne_u32_e64 s1, v24, v25
	v_bfe_u32 v23, v2, 20, 11
	s_wait_alu 0xfffe
	v_add_co_ci_u32_e32 v9, vcc_lo, 0, v9, vcc_lo
	v_cmp_ne_u32_e32 vcc_lo, 0, v13
	s_wait_alu 0xf1ff
	v_cndmask_b32_e64 v10, 0, 1, s1
	v_and_or_b32 v3, 0x8000, v3, v15
	s_wait_alu 0xfffd
	v_cndmask_b32_e64 v13, 0, 1, vcc_lo
	v_cmp_gt_i32_e32 vcc_lo, 31, v19
	v_or_b32_e32 v18, v26, v10
	v_and_b32_e32 v3, 0xffff, v3
	s_delay_alu instid0(VALU_DEP_4)
	v_lshl_or_b32 v13, v13, 9, 0x7c00
	s_wait_alu 0xfffd
	v_cndmask_b32_e32 v21, 0x7c00, v9, vcc_lo
	v_mul_f64_e32 v[9:10], s[10:11], v[11:12]
	v_add_co_u32 v11, vcc_lo, v4, s14
	s_wait_alu 0xfffd
	v_add_co_ci_u32_e32 v12, vcc_lo, s15, v5, vcc_lo
	v_cmp_gt_i32_e32 vcc_lo, 1, v16
	s_wait_alu 0xfffd
	v_cndmask_b32_e32 v18, v20, v18, vcc_lo
	v_cmp_ne_u32_e32 vcc_lo, 0, v1
	v_lshrrev_b32_e32 v20, 8, v2
	v_lshrrev_b32_e32 v2, 16, v2
	s_wait_alu 0xfffd
	v_cndmask_b32_e64 v1, 0, 1, vcc_lo
	v_cmp_eq_u32_e32 vcc_lo, 0x40f, v19
	v_and_b32_e32 v19, 7, v18
	v_lshrrev_b32_e32 v18, 2, v18
	v_and_or_b32 v6, 0x1ff, v7, v6
	v_and_or_b32 v1, 0xffe, v20, v1
	s_wait_alu 0xfffd
	v_cndmask_b32_e32 v13, v21, v13, vcc_lo
	v_sub_nc_u32_e32 v20, 0x3f1, v23
	v_cmp_lt_i32_e32 vcc_lo, 5, v19
	v_cmp_eq_u32_e64 s0, 3, v19
	v_bfe_u32 v21, v7, 20, 11
	v_and_or_b32 v13, 0x8000, v14, v13
	v_or_b32_e32 v14, 0x1000, v1
	v_med3_i32 v15, v20, 0, 13
	s_or_b32 vcc_lo, s0, vcc_lo
	v_lshrrev_b32_e32 v20, 8, v7
	s_wait_alu 0xfffe
	v_add_co_ci_u32_e32 v18, vcc_lo, 0, v18, vcc_lo
	v_lshrrev_b32_e32 v19, v15, v14
	v_cmp_ne_u32_e32 vcc_lo, 0, v6
	v_lshrrev_b32_e32 v7, 16, v7
	v_lshl_or_b32 v3, v13, 16, v3
	v_and_or_b32 v9, 0x1ff, v10, v9
	v_lshlrev_b32_e32 v15, v15, v19
	s_wait_alu 0xfffd
	v_cndmask_b32_e64 v6, 0, 1, vcc_lo
	v_cmp_ne_u32_e32 vcc_lo, 0, v22
	v_lshrrev_b32_e32 v24, 8, v10
	v_bfe_u32 v25, v10, 20, 11
	s_delay_alu instid0(VALU_DEP_4)
	v_and_or_b32 v6, 0xffe, v20, v6
	s_wait_alu 0xfffd
	v_cndmask_b32_e64 v22, 0, 1, vcc_lo
	v_cmp_ne_u32_e32 vcc_lo, v15, v14
	v_sub_nc_u32_e32 v20, 0x3f1, v21
	v_add_nc_u32_e32 v15, 0xfffffc10, v23
	v_or_b32_e32 v23, 0x1000, v6
	s_wait_alu 0xfffd
	v_cndmask_b32_e64 v14, 0, 1, vcc_lo
	v_cmp_gt_i32_e32 vcc_lo, 31, v16
	v_med3_i32 v20, v20, 0, 13
	s_delay_alu instid0(VALU_DEP_3)
	v_or_b32_e32 v14, v19, v14
	s_wait_alu 0xfffd
	v_cndmask_b32_e32 v18, 0x7c00, v18, vcc_lo
	v_cmp_ne_u32_e32 vcc_lo, 0, v9
	v_lshl_or_b32 v19, v15, 12, v1
	v_lshrrev_b32_e32 v26, v20, v23
	s_wait_alu 0xfffd
	v_cndmask_b32_e64 v9, 0, 1, vcc_lo
	v_cmp_gt_i32_e32 vcc_lo, 1, v15
	s_delay_alu instid0(VALU_DEP_3) | instskip(NEXT) | instid1(VALU_DEP_3)
	v_lshlrev_b32_e32 v20, v20, v26
	v_and_or_b32 v9, 0xffe, v24, v9
	v_sub_nc_u32_e32 v24, 0x3f1, v25
	s_wait_alu 0xfffd
	v_cndmask_b32_e32 v14, v19, v14, vcc_lo
	v_lshl_or_b32 v19, v22, 9, 0x7c00
	v_cmp_eq_u32_e32 vcc_lo, 0x40f, v16
	v_or_b32_e32 v22, 0x1000, v9
	v_med3_i32 v24, v24, 0, 13
	v_and_b32_e32 v27, 7, v14
	v_lshrrev_b32_e32 v14, 2, v14
	s_wait_alu 0xfffd
	v_cndmask_b32_e32 v16, v18, v19, vcc_lo
	v_cmp_ne_u32_e32 vcc_lo, v20, v23
	v_add_nc_u32_e32 v19, 0xfffffc10, v21
	v_lshrrev_b32_e32 v20, v24, v22
	v_cmp_eq_u32_e64 s0, 3, v27
	v_and_or_b32 v8, 0x8000, v8, v16
	s_wait_alu 0xfffd
	v_cndmask_b32_e64 v18, 0, 1, vcc_lo
	v_lshl_or_b32 v21, v19, 12, v6
	v_lshlrev_b32_e32 v23, v24, v20
	v_cmp_gt_i32_e64 s1, 1, v19
	v_cmp_lt_i32_e32 vcc_lo, 5, v27
	v_or_b32_e32 v18, v26, v18
	v_and_b32_e32 v8, 0xffff, v8
	s_or_b32 vcc_lo, s0, vcc_lo
	s_delay_alu instid0(VALU_DEP_2)
	v_cndmask_b32_e64 v18, v21, v18, s1
	v_cmp_ne_u32_e64 s1, v23, v22
	v_add_nc_u32_e32 v22, 0xfffffc10, v25
	s_wait_alu 0xfffe
	v_add_co_ci_u32_e32 v14, vcc_lo, 0, v14, vcc_lo
	v_and_b32_e32 v23, 7, v18
	s_wait_alu 0xf1ff
	v_cndmask_b32_e64 v21, 0, 1, s1
	v_cmp_ne_u32_e32 vcc_lo, 0, v1
	v_cmp_gt_i32_e64 s0, 1, v22
	v_lshrrev_b32_e32 v18, 2, v18
	v_cmp_gt_i32_e64 s1, 31, v15
	v_or_b32_e32 v20, v20, v21
	v_lshl_or_b32 v21, v22, 12, v9
	s_wait_alu 0xfffd
	v_cndmask_b32_e64 v1, 0, 1, vcc_lo
	v_cmp_lt_i32_e32 vcc_lo, 5, v23
	s_wait_alu 0xf1ff
	v_cndmask_b32_e64 v14, 0x7c00, v14, s1
	v_cmp_eq_u32_e64 s1, 0x40f, v15
	v_cndmask_b32_e64 v16, v21, v20, s0
	v_cmp_eq_u32_e64 s0, 3, v23
	v_lshl_or_b32 v1, v1, 9, 0x7c00
	s_delay_alu instid0(VALU_DEP_3) | instskip(NEXT) | instid1(VALU_DEP_3)
	v_and_b32_e32 v20, 7, v16
	s_or_b32 vcc_lo, s0, vcc_lo
	s_delay_alu instid0(VALU_DEP_2)
	v_cndmask_b32_e64 v1, v14, v1, s1
	s_wait_alu 0xfffe
	v_add_co_ci_u32_e32 v18, vcc_lo, 0, v18, vcc_lo
	v_cmp_ne_u32_e32 vcc_lo, 0, v6
	v_cmp_eq_u32_e64 s0, 3, v20
	v_lshrrev_b32_e32 v14, 2, v16
	v_cmp_gt_i32_e64 s1, 31, v19
	v_and_or_b32 v13, 0x8000, v2, v1
	s_wait_alu 0xfffd
	v_cndmask_b32_e64 v6, 0, 1, vcc_lo
	v_cmp_lt_i32_e32 vcc_lo, 5, v20
	s_wait_alu 0xf1ff
	v_cndmask_b32_e64 v15, 0x7c00, v18, s1
	s_delay_alu instid0(VALU_DEP_3)
	v_lshl_or_b32 v6, v6, 9, 0x7c00
	s_or_b32 vcc_lo, s0, vcc_lo
	s_wait_alu 0xfffe
	v_add_co_ci_u32_e32 v14, vcc_lo, 0, v14, vcc_lo
	v_cmp_ne_u32_e32 vcc_lo, 0, v9
	s_wait_alu 0xfffd
	v_cndmask_b32_e64 v9, 0, 1, vcc_lo
	v_cmp_eq_u32_e32 vcc_lo, 0x40f, v19
	s_delay_alu instid0(VALU_DEP_2) | instskip(SKIP_3) | instid1(VALU_DEP_2)
	v_lshl_or_b32 v9, v9, 9, 0x7c00
	s_wait_alu 0xfffd
	v_cndmask_b32_e32 v6, v15, v6, vcc_lo
	v_cmp_gt_i32_e32 vcc_lo, 31, v22
	v_and_or_b32 v6, 0x8000, v7, v6
	s_wait_alu 0xfffd
	v_cndmask_b32_e32 v14, 0x7c00, v14, vcc_lo
	v_cmp_eq_u32_e32 vcc_lo, 0x40f, v22
	s_wait_alu 0xfffd
	s_delay_alu instid0(VALU_DEP_2)
	v_cndmask_b32_e32 v7, v14, v9, vcc_lo
	v_lshrrev_b32_e32 v9, 16, v10
	v_add_co_u32 v1, vcc_lo, v11, s8
	s_wait_alu 0xfffd
	v_add_co_ci_u32_e32 v2, vcc_lo, s9, v12, vcc_lo
	v_lshl_or_b32 v10, v13, 16, v8
	v_and_or_b32 v8, 0x8000, v9, v7
	v_and_b32_e32 v9, 0xffff, v6
	v_add_co_u32 v6, vcc_lo, v1, s14
	s_wait_alu 0xfffd
	v_add_co_ci_u32_e32 v7, vcc_lo, s15, v2, vcc_lo
	s_delay_alu instid0(VALU_DEP_3) | instskip(NEXT) | instid1(VALU_DEP_3)
	v_lshl_or_b32 v13, v8, 16, v9
	v_add_co_u32 v8, vcc_lo, v6, s14
	s_wait_alu 0xfffd
	s_delay_alu instid0(VALU_DEP_3)
	v_add_co_ci_u32_e32 v9, vcc_lo, s15, v7, vcc_lo
	global_store_b32 v[4:5], v0, off
	global_store_b32 v[11:12], v17, off
	;; [unrolled: 1-line block ×5, first 2 shown]
.LBB0_2:
	s_nop 0
	s_sendmsg sendmsg(MSG_DEALLOC_VGPRS)
	s_endpgm
	.section	.rodata,"a",@progbits
	.p2align	6, 0x0
	.amdhsa_kernel bluestein_single_fwd_len3750_dim1_half_op_CI_CI
		.amdhsa_group_segment_fixed_size 15000
		.amdhsa_private_segment_fixed_size 328
		.amdhsa_kernarg_size 104
		.amdhsa_user_sgpr_count 2
		.amdhsa_user_sgpr_dispatch_ptr 0
		.amdhsa_user_sgpr_queue_ptr 0
		.amdhsa_user_sgpr_kernarg_segment_ptr 1
		.amdhsa_user_sgpr_dispatch_id 0
		.amdhsa_user_sgpr_private_segment_size 0
		.amdhsa_wavefront_size32 1
		.amdhsa_uses_dynamic_stack 0
		.amdhsa_enable_private_segment 1
		.amdhsa_system_sgpr_workgroup_id_x 1
		.amdhsa_system_sgpr_workgroup_id_y 0
		.amdhsa_system_sgpr_workgroup_id_z 0
		.amdhsa_system_sgpr_workgroup_info 0
		.amdhsa_system_vgpr_workitem_id 0
		.amdhsa_next_free_vgpr 256
		.amdhsa_next_free_sgpr 20
		.amdhsa_reserve_vcc 1
		.amdhsa_float_round_mode_32 0
		.amdhsa_float_round_mode_16_64 0
		.amdhsa_float_denorm_mode_32 3
		.amdhsa_float_denorm_mode_16_64 3
		.amdhsa_fp16_overflow 0
		.amdhsa_workgroup_processor_mode 1
		.amdhsa_memory_ordered 1
		.amdhsa_forward_progress 0
		.amdhsa_round_robin_scheduling 0
		.amdhsa_exception_fp_ieee_invalid_op 0
		.amdhsa_exception_fp_denorm_src 0
		.amdhsa_exception_fp_ieee_div_zero 0
		.amdhsa_exception_fp_ieee_overflow 0
		.amdhsa_exception_fp_ieee_underflow 0
		.amdhsa_exception_fp_ieee_inexact 0
		.amdhsa_exception_int_div_zero 0
	.end_amdhsa_kernel
	.text
.Lfunc_end0:
	.size	bluestein_single_fwd_len3750_dim1_half_op_CI_CI, .Lfunc_end0-bluestein_single_fwd_len3750_dim1_half_op_CI_CI
                                        ; -- End function
	.section	.AMDGPU.csdata,"",@progbits
; Kernel info:
; codeLenInByte = 64660
; NumSgprs: 22
; NumVgprs: 256
; ScratchSize: 328
; MemoryBound: 0
; FloatMode: 240
; IeeeMode: 1
; LDSByteSize: 15000 bytes/workgroup (compile time only)
; SGPRBlocks: 2
; VGPRBlocks: 31
; NumSGPRsForWavesPerEU: 22
; NumVGPRsForWavesPerEU: 256
; Occupancy: 5
; WaveLimiterHint : 1
; COMPUTE_PGM_RSRC2:SCRATCH_EN: 1
; COMPUTE_PGM_RSRC2:USER_SGPR: 2
; COMPUTE_PGM_RSRC2:TRAP_HANDLER: 0
; COMPUTE_PGM_RSRC2:TGID_X_EN: 1
; COMPUTE_PGM_RSRC2:TGID_Y_EN: 0
; COMPUTE_PGM_RSRC2:TGID_Z_EN: 0
; COMPUTE_PGM_RSRC2:TIDIG_COMP_CNT: 0
	.text
	.p2alignl 7, 3214868480
	.fill 96, 4, 3214868480
	.type	__hip_cuid_cc6d9c55b0e262da,@object ; @__hip_cuid_cc6d9c55b0e262da
	.section	.bss,"aw",@nobits
	.globl	__hip_cuid_cc6d9c55b0e262da
__hip_cuid_cc6d9c55b0e262da:
	.byte	0                               ; 0x0
	.size	__hip_cuid_cc6d9c55b0e262da, 1

	.ident	"AMD clang version 19.0.0git (https://github.com/RadeonOpenCompute/llvm-project roc-6.4.0 25133 c7fe45cf4b819c5991fe208aaa96edf142730f1d)"
	.section	".note.GNU-stack","",@progbits
	.addrsig
	.addrsig_sym __hip_cuid_cc6d9c55b0e262da
	.amdgpu_metadata
---
amdhsa.kernels:
  - .args:
      - .actual_access:  read_only
        .address_space:  global
        .offset:         0
        .size:           8
        .value_kind:     global_buffer
      - .actual_access:  read_only
        .address_space:  global
        .offset:         8
        .size:           8
        .value_kind:     global_buffer
      - .actual_access:  read_only
        .address_space:  global
        .offset:         16
        .size:           8
        .value_kind:     global_buffer
      - .actual_access:  read_only
        .address_space:  global
        .offset:         24
        .size:           8
        .value_kind:     global_buffer
      - .actual_access:  read_only
        .address_space:  global
        .offset:         32
        .size:           8
        .value_kind:     global_buffer
      - .offset:         40
        .size:           8
        .value_kind:     by_value
      - .address_space:  global
        .offset:         48
        .size:           8
        .value_kind:     global_buffer
      - .address_space:  global
        .offset:         56
        .size:           8
        .value_kind:     global_buffer
      - .address_space:  global
        .offset:         64
        .size:           8
        .value_kind:     global_buffer
      - .address_space:  global
        .offset:         72
        .size:           8
        .value_kind:     global_buffer
      - .offset:         80
        .size:           4
        .value_kind:     by_value
      - .address_space:  global
        .offset:         88
        .size:           8
        .value_kind:     global_buffer
      - .address_space:  global
        .offset:         96
        .size:           8
        .value_kind:     global_buffer
    .group_segment_fixed_size: 15000
    .kernarg_segment_align: 8
    .kernarg_segment_size: 104
    .language:       OpenCL C
    .language_version:
      - 2
      - 0
    .max_flat_workgroup_size: 125
    .name:           bluestein_single_fwd_len3750_dim1_half_op_CI_CI
    .private_segment_fixed_size: 328
    .sgpr_count:     22
    .sgpr_spill_count: 0
    .symbol:         bluestein_single_fwd_len3750_dim1_half_op_CI_CI.kd
    .uniform_work_group_size: 1
    .uses_dynamic_stack: false
    .vgpr_count:     256
    .vgpr_spill_count: 81
    .wavefront_size: 32
    .workgroup_processor_mode: 1
amdhsa.target:   amdgcn-amd-amdhsa--gfx1201
amdhsa.version:
  - 1
  - 2
...

	.end_amdgpu_metadata
